;; amdgpu-corpus repo=ROCm/rocFFT kind=compiled arch=gfx906 opt=O3
	.text
	.amdgcn_target "amdgcn-amd-amdhsa--gfx906"
	.amdhsa_code_object_version 6
	.protected	fft_rtc_fwd_len1496_factors_17_8_11_wgs_187_tpt_187_halfLds_half_ip_CI_unitstride_sbrr_R2C_dirReg ; -- Begin function fft_rtc_fwd_len1496_factors_17_8_11_wgs_187_tpt_187_halfLds_half_ip_CI_unitstride_sbrr_R2C_dirReg
	.globl	fft_rtc_fwd_len1496_factors_17_8_11_wgs_187_tpt_187_halfLds_half_ip_CI_unitstride_sbrr_R2C_dirReg
	.p2align	8
	.type	fft_rtc_fwd_len1496_factors_17_8_11_wgs_187_tpt_187_halfLds_half_ip_CI_unitstride_sbrr_R2C_dirReg,@function
fft_rtc_fwd_len1496_factors_17_8_11_wgs_187_tpt_187_halfLds_half_ip_CI_unitstride_sbrr_R2C_dirReg: ; @fft_rtc_fwd_len1496_factors_17_8_11_wgs_187_tpt_187_halfLds_half_ip_CI_unitstride_sbrr_R2C_dirReg
; %bb.0:
	s_load_dwordx2 s[2:3], s[4:5], 0x50
	s_load_dwordx4 s[8:11], s[4:5], 0x0
	s_load_dwordx2 s[12:13], s[4:5], 0x18
	v_mul_u32_u24_e32 v1, 0x15f, v0
	v_add_u32_sdwa v5, s6, v1 dst_sel:DWORD dst_unused:UNUSED_PAD src0_sel:DWORD src1_sel:WORD_1
	v_mov_b32_e32 v3, 0
	s_waitcnt lgkmcnt(0)
	v_cmp_lt_u64_e64 s[0:1], s[10:11], 2
	v_mov_b32_e32 v1, 0
	v_mov_b32_e32 v6, v3
	s_and_b64 vcc, exec, s[0:1]
	v_mov_b32_e32 v2, 0
	s_cbranch_vccnz .LBB0_8
; %bb.1:
	s_load_dwordx2 s[0:1], s[4:5], 0x10
	s_add_u32 s6, s12, 8
	s_addc_u32 s7, s13, 0
	v_mov_b32_e32 v1, 0
	v_mov_b32_e32 v2, 0
	s_waitcnt lgkmcnt(0)
	s_add_u32 s14, s0, 8
	s_addc_u32 s15, s1, 0
	s_mov_b64 s[16:17], 1
.LBB0_2:                                ; =>This Inner Loop Header: Depth=1
	s_load_dwordx2 s[18:19], s[14:15], 0x0
                                        ; implicit-def: $vgpr7_vgpr8
	s_waitcnt lgkmcnt(0)
	v_or_b32_e32 v4, s19, v6
	v_cmp_ne_u64_e32 vcc, 0, v[3:4]
	s_and_saveexec_b64 s[0:1], vcc
	s_xor_b64 s[20:21], exec, s[0:1]
	s_cbranch_execz .LBB0_4
; %bb.3:                                ;   in Loop: Header=BB0_2 Depth=1
	v_cvt_f32_u32_e32 v4, s18
	v_cvt_f32_u32_e32 v7, s19
	s_sub_u32 s0, 0, s18
	s_subb_u32 s1, 0, s19
	v_mac_f32_e32 v4, 0x4f800000, v7
	v_rcp_f32_e32 v4, v4
	v_mul_f32_e32 v4, 0x5f7ffffc, v4
	v_mul_f32_e32 v7, 0x2f800000, v4
	v_trunc_f32_e32 v7, v7
	v_mac_f32_e32 v4, 0xcf800000, v7
	v_cvt_u32_f32_e32 v7, v7
	v_cvt_u32_f32_e32 v4, v4
	v_mul_lo_u32 v8, s0, v7
	v_mul_hi_u32 v9, s0, v4
	v_mul_lo_u32 v11, s1, v4
	v_mul_lo_u32 v10, s0, v4
	v_add_u32_e32 v8, v9, v8
	v_add_u32_e32 v8, v8, v11
	v_mul_hi_u32 v9, v4, v10
	v_mul_lo_u32 v11, v4, v8
	v_mul_hi_u32 v13, v4, v8
	v_mul_hi_u32 v12, v7, v10
	v_mul_lo_u32 v10, v7, v10
	v_mul_hi_u32 v14, v7, v8
	v_add_co_u32_e32 v9, vcc, v9, v11
	v_addc_co_u32_e32 v11, vcc, 0, v13, vcc
	v_mul_lo_u32 v8, v7, v8
	v_add_co_u32_e32 v9, vcc, v9, v10
	v_addc_co_u32_e32 v9, vcc, v11, v12, vcc
	v_addc_co_u32_e32 v10, vcc, 0, v14, vcc
	v_add_co_u32_e32 v8, vcc, v9, v8
	v_addc_co_u32_e32 v9, vcc, 0, v10, vcc
	v_add_co_u32_e32 v4, vcc, v4, v8
	v_addc_co_u32_e32 v7, vcc, v7, v9, vcc
	v_mul_lo_u32 v8, s0, v7
	v_mul_hi_u32 v9, s0, v4
	v_mul_lo_u32 v10, s1, v4
	v_mul_lo_u32 v11, s0, v4
	v_add_u32_e32 v8, v9, v8
	v_add_u32_e32 v8, v8, v10
	v_mul_lo_u32 v12, v4, v8
	v_mul_hi_u32 v13, v4, v11
	v_mul_hi_u32 v14, v4, v8
	;; [unrolled: 1-line block ×3, first 2 shown]
	v_mul_lo_u32 v11, v7, v11
	v_mul_hi_u32 v9, v7, v8
	v_add_co_u32_e32 v12, vcc, v13, v12
	v_addc_co_u32_e32 v13, vcc, 0, v14, vcc
	v_mul_lo_u32 v8, v7, v8
	v_add_co_u32_e32 v11, vcc, v12, v11
	v_addc_co_u32_e32 v10, vcc, v13, v10, vcc
	v_addc_co_u32_e32 v9, vcc, 0, v9, vcc
	v_add_co_u32_e32 v8, vcc, v10, v8
	v_addc_co_u32_e32 v9, vcc, 0, v9, vcc
	v_add_co_u32_e32 v4, vcc, v4, v8
	v_addc_co_u32_e32 v9, vcc, v7, v9, vcc
	v_mad_u64_u32 v[7:8], s[0:1], v5, v9, 0
	v_mul_hi_u32 v10, v5, v4
	v_add_co_u32_e32 v11, vcc, v10, v7
	v_addc_co_u32_e32 v12, vcc, 0, v8, vcc
	v_mad_u64_u32 v[7:8], s[0:1], v6, v4, 0
	v_mad_u64_u32 v[9:10], s[0:1], v6, v9, 0
	v_add_co_u32_e32 v4, vcc, v11, v7
	v_addc_co_u32_e32 v4, vcc, v12, v8, vcc
	v_addc_co_u32_e32 v7, vcc, 0, v10, vcc
	v_add_co_u32_e32 v4, vcc, v4, v9
	v_addc_co_u32_e32 v9, vcc, 0, v7, vcc
	v_mul_lo_u32 v10, s19, v4
	v_mul_lo_u32 v11, s18, v9
	v_mad_u64_u32 v[7:8], s[0:1], s18, v4, 0
	v_add3_u32 v8, v8, v11, v10
	v_sub_u32_e32 v10, v6, v8
	v_mov_b32_e32 v11, s19
	v_sub_co_u32_e32 v7, vcc, v5, v7
	v_subb_co_u32_e64 v10, s[0:1], v10, v11, vcc
	v_subrev_co_u32_e64 v11, s[0:1], s18, v7
	v_subbrev_co_u32_e64 v10, s[0:1], 0, v10, s[0:1]
	v_cmp_le_u32_e64 s[0:1], s19, v10
	v_cndmask_b32_e64 v12, 0, -1, s[0:1]
	v_cmp_le_u32_e64 s[0:1], s18, v11
	v_cndmask_b32_e64 v11, 0, -1, s[0:1]
	v_cmp_eq_u32_e64 s[0:1], s19, v10
	v_cndmask_b32_e64 v10, v12, v11, s[0:1]
	v_add_co_u32_e64 v11, s[0:1], 2, v4
	v_addc_co_u32_e64 v12, s[0:1], 0, v9, s[0:1]
	v_add_co_u32_e64 v13, s[0:1], 1, v4
	v_addc_co_u32_e64 v14, s[0:1], 0, v9, s[0:1]
	v_subb_co_u32_e32 v8, vcc, v6, v8, vcc
	v_cmp_ne_u32_e64 s[0:1], 0, v10
	v_cmp_le_u32_e32 vcc, s19, v8
	v_cndmask_b32_e64 v10, v14, v12, s[0:1]
	v_cndmask_b32_e64 v12, 0, -1, vcc
	v_cmp_le_u32_e32 vcc, s18, v7
	v_cndmask_b32_e64 v7, 0, -1, vcc
	v_cmp_eq_u32_e32 vcc, s19, v8
	v_cndmask_b32_e32 v7, v12, v7, vcc
	v_cmp_ne_u32_e32 vcc, 0, v7
	v_cndmask_b32_e64 v7, v13, v11, s[0:1]
	v_cndmask_b32_e32 v8, v9, v10, vcc
	v_cndmask_b32_e32 v7, v4, v7, vcc
.LBB0_4:                                ;   in Loop: Header=BB0_2 Depth=1
	s_andn2_saveexec_b64 s[0:1], s[20:21]
	s_cbranch_execz .LBB0_6
; %bb.5:                                ;   in Loop: Header=BB0_2 Depth=1
	v_cvt_f32_u32_e32 v4, s18
	s_sub_i32 s20, 0, s18
	v_rcp_iflag_f32_e32 v4, v4
	v_mul_f32_e32 v4, 0x4f7ffffe, v4
	v_cvt_u32_f32_e32 v4, v4
	v_mul_lo_u32 v7, s20, v4
	v_mul_hi_u32 v7, v4, v7
	v_add_u32_e32 v4, v4, v7
	v_mul_hi_u32 v4, v5, v4
	v_mul_lo_u32 v7, v4, s18
	v_add_u32_e32 v8, 1, v4
	v_sub_u32_e32 v7, v5, v7
	v_subrev_u32_e32 v9, s18, v7
	v_cmp_le_u32_e32 vcc, s18, v7
	v_cndmask_b32_e32 v7, v7, v9, vcc
	v_cndmask_b32_e32 v4, v4, v8, vcc
	v_add_u32_e32 v8, 1, v4
	v_cmp_le_u32_e32 vcc, s18, v7
	v_cndmask_b32_e32 v7, v4, v8, vcc
	v_mov_b32_e32 v8, v3
.LBB0_6:                                ;   in Loop: Header=BB0_2 Depth=1
	s_or_b64 exec, exec, s[0:1]
	v_mul_lo_u32 v4, v8, s18
	v_mul_lo_u32 v11, v7, s19
	v_mad_u64_u32 v[9:10], s[0:1], v7, s18, 0
	s_load_dwordx2 s[0:1], s[6:7], 0x0
	s_add_u32 s16, s16, 1
	v_add3_u32 v4, v10, v11, v4
	v_sub_co_u32_e32 v5, vcc, v5, v9
	v_subb_co_u32_e32 v4, vcc, v6, v4, vcc
	s_waitcnt lgkmcnt(0)
	v_mul_lo_u32 v4, s0, v4
	v_mul_lo_u32 v6, s1, v5
	v_mad_u64_u32 v[1:2], s[0:1], s0, v5, v[1:2]
	s_addc_u32 s17, s17, 0
	s_add_u32 s6, s6, 8
	v_add3_u32 v2, v6, v2, v4
	v_mov_b32_e32 v4, s10
	v_mov_b32_e32 v5, s11
	s_addc_u32 s7, s7, 0
	v_cmp_ge_u64_e32 vcc, s[16:17], v[4:5]
	s_add_u32 s14, s14, 8
	s_addc_u32 s15, s15, 0
	s_cbranch_vccnz .LBB0_9
; %bb.7:                                ;   in Loop: Header=BB0_2 Depth=1
	v_mov_b32_e32 v5, v7
	v_mov_b32_e32 v6, v8
	s_branch .LBB0_2
.LBB0_8:
	v_mov_b32_e32 v8, v6
	v_mov_b32_e32 v7, v5
.LBB0_9:
	s_lshl_b64 s[0:1], s[10:11], 3
	s_add_u32 s0, s12, s0
	s_addc_u32 s1, s13, s1
	s_load_dwordx2 s[6:7], s[0:1], 0x0
	s_load_dwordx2 s[10:11], s[4:5], 0x20
	s_waitcnt lgkmcnt(0)
	v_mad_u64_u32 v[1:2], s[0:1], s6, v7, v[1:2]
	s_mov_b32 s0, 0x15e75bc
	v_mul_lo_u32 v3, s6, v8
	v_mul_lo_u32 v4, s7, v7
	v_mul_hi_u32 v5, v0, s0
	v_cmp_gt_u64_e64 s[0:1], s[10:11], v[7:8]
	v_add3_u32 v2, v4, v2, v3
	v_mul_u32_u24_e32 v3, 0xbb, v5
	v_sub_u32_e32 v4, v0, v3
	v_lshlrev_b64 v[6:7], 2, v[1:2]
	v_lshl_add_u32 v22, v4, 2, 0
	s_and_saveexec_b64 s[4:5], s[0:1]
	s_cbranch_execz .LBB0_11
; %bb.10:
	v_mov_b32_e32 v5, 0
	v_mov_b32_e32 v0, s3
	v_add_co_u32_e32 v2, vcc, s2, v6
	v_addc_co_u32_e32 v3, vcc, v0, v7, vcc
	v_lshlrev_b64 v[0:1], 2, v[4:5]
	v_add_co_u32_e32 v0, vcc, v2, v0
	v_addc_co_u32_e32 v1, vcc, v3, v1, vcc
	v_add_co_u32_e32 v2, vcc, 0x1000, v0
	v_addc_co_u32_e32 v3, vcc, 0, v1, vcc
	global_load_dword v5, v[0:1], off
	global_load_dword v8, v[0:1], off offset:748
	global_load_dword v9, v[0:1], off offset:1496
	;; [unrolled: 1-line block ×7, first 2 shown]
	v_add_u32_e32 v0, 0x500, v22
	v_add_u32_e32 v1, 0xb00, v22
	s_waitcnt vmcnt(6)
	ds_write2_b32 v22, v5, v8 offset1:187
	s_waitcnt vmcnt(4)
	ds_write2_b32 v0, v9, v10 offset0:54 offset1:241
	s_waitcnt vmcnt(2)
	ds_write2_b32 v1, v11, v12 offset0:44 offset1:231
	v_add_u32_e32 v0, 0x1100, v22
	s_waitcnt vmcnt(0)
	ds_write2_b32 v0, v13, v14 offset0:34 offset1:221
.LBB0_11:
	s_or_b64 exec, exec, s[4:5]
	v_add_u32_e32 v0, 0x200, v22
	s_waitcnt lgkmcnt(0)
	s_barrier
	ds_read2_b32 v[8:9], v22 offset1:88
	ds_read_b32 v23, v22 offset:5632
	ds_read2_b32 v[18:19], v0 offset0:48 offset1:136
	v_add_u32_e32 v0, 0x1200, v22
	ds_read2_b32 v[2:3], v0 offset0:80 offset1:168
	s_mov_b32 s5, 0xb1e1b836
	s_waitcnt lgkmcnt(2)
	v_pk_add_f16 v31, v9, v23 op_sel:[1,1] op_sel_hi:[0,0] neg_lo:[0,1] neg_hi:[0,1]
	v_pk_add_f16 v25, v23, v9 op_sel:[1,1] op_sel_hi:[0,0]
	s_mov_b32 s4, 0xbacdbbdd
	s_waitcnt lgkmcnt(0)
	v_pk_add_f16 v24, v3, v18
	v_pk_mul_f16 v0, v31, s5
	s_mov_b32 s6, 0x3b763722
	v_pk_add_f16 v32, v18, v3 neg_lo:[0,1] neg_hi:[0,1]
	v_pk_fma_f16 v1, v25, s4, v0 op_sel:[0,0,1] op_sel_hi:[1,1,0]
	v_pk_fma_f16 v35, v25, s4, v0 op_sel:[0,0,1] op_sel_hi:[1,1,0] neg_lo:[0,0,1] neg_hi:[0,0,1]
	s_mov_b32 s5, 0xffff
	v_pk_mul_f16 v5, v24, s6
	s_mov_b32 s6, 0x3b2935c8
	v_bfi_b32 v1, s5, v35, v1
	v_pk_fma_f16 v10, v32, s6, v5 op_sel:[0,0,1] op_sel_hi:[1,1,0]
	v_pk_fma_f16 v39, v32, s6, v5 op_sel:[0,0,1] op_sel_hi:[1,1,0] neg_lo:[1,0,0] neg_hi:[1,0,0]
	v_pk_add_f16 v1, v8, v1 op_sel:[1,0] op_sel_hi:[0,1]
	v_bfi_b32 v10, s5, v39, v10
	v_pk_add_f16 v1, v10, v1
	v_add_u32_e32 v10, 0x400, v22
	ds_read2_b32 v[20:21], v10 offset0:96 offset1:184
	v_add_u32_e32 v10, 0x1000, v22
	ds_read2_b32 v[10:11], v10 offset0:32 offset1:120
	v_pk_add_f16 v26, v2, v19
	s_mov_b32 s7, 0xbacd2de8
	s_mov_b32 s10, 0xbbf7b836
	v_pk_add_f16 v36, v19, v2 neg_lo:[0,1] neg_hi:[0,1]
	v_pk_mul_f16 v16, v26, s7
	v_pk_fma_f16 v12, v36, s10, v16 op_sel:[0,0,1] op_sel_hi:[1,1,0]
	v_pk_fma_f16 v42, v36, s10, v16 op_sel:[0,0,1] op_sel_hi:[1,1,0] neg_lo:[1,0,0] neg_hi:[1,0,0]
	s_mov_b32 s7, 0x39e9b8d2
	s_waitcnt lgkmcnt(0)
	v_pk_add_f16 v27, v11, v20
	v_bfi_b32 v12, s5, v42, v12
	s_mov_b32 s11, 0x3a623964
	v_pk_add_f16 v37, v20, v11 neg_lo:[0,1] neg_hi:[0,1]
	v_pk_mul_f16 v17, v27, s7
	v_pk_add_f16 v1, v12, v1
	v_pk_fma_f16 v12, v37, s11, v17 op_sel:[0,0,1] op_sel_hi:[1,1,0]
	v_pk_fma_f16 v43, v37, s11, v17 op_sel:[0,0,1] op_sel_hi:[1,1,0] neg_lo:[1,0,0] neg_hi:[1,0,0]
	v_bfi_b32 v12, s5, v43, v12
	v_pk_add_f16 v1, v12, v1
	v_add_u32_e32 v12, 0x800, v22
	ds_read2_b32 v[14:15], v12 offset0:16 offset1:104
	v_add_u32_e32 v12, 0xc00, v22
	ds_read2_b32 v[12:13], v12 offset0:112 offset1:200
	s_mov_b32 s7, 0xb8d23b76
	v_pk_add_f16 v28, v10, v21
	s_mov_b32 s12, 0xb5c8ba62
	v_pk_add_f16 v38, v21, v10 neg_lo:[0,1] neg_hi:[0,1]
	v_pk_mul_f16 v33, v28, s7
	v_pk_fma_f16 v29, v38, s12, v33 op_sel:[0,0,1] op_sel_hi:[1,1,0]
	v_pk_fma_f16 v44, v38, s12, v33 op_sel:[0,0,1] op_sel_hi:[1,1,0] neg_lo:[1,0,0] neg_hi:[1,0,0]
	v_bfi_b32 v29, s5, v44, v29
	v_pk_add_f16 v1, v29, v1
	s_mov_b32 s7, 0x3722bbdd
	s_waitcnt lgkmcnt(0)
	v_pk_add_f16 v29, v13, v14
	s_mov_b32 s13, 0xb1e13b29
	v_pk_add_f16 v40, v14, v13 neg_lo:[0,1] neg_hi:[0,1]
	v_pk_mul_f16 v52, v29, s7
	v_pk_fma_f16 v30, v40, s13, v52 op_sel:[0,0,1] op_sel_hi:[1,1,0]
	v_pk_fma_f16 v45, v40, s13, v52 op_sel:[0,0,1] op_sel_hi:[1,1,0] neg_lo:[1,0,0] neg_hi:[1,0,0]
	v_bfi_b32 v30, s5, v45, v30
	v_pk_add_f16 v1, v30, v1
	s_mov_b32 s7, 0xb46139e9
	v_pk_add_f16 v30, v12, v15
	s_mov_b32 s14, 0x3964bbb2
	v_pk_add_f16 v41, v15, v12 neg_lo:[0,1] neg_hi:[0,1]
	v_pk_mul_f16 v61, v30, s7
	v_pk_fma_f16 v34, v41, s14, v61 op_sel:[0,0,1] op_sel_hi:[1,1,0]
	v_pk_fma_f16 v46, v41, s14, v61 op_sel:[0,0,1] op_sel_hi:[1,1,0] neg_lo:[1,0,0] neg_hi:[1,0,0]
	v_bfi_b32 v34, s5, v46, v34
	s_mov_b32 s7, 0xbbddbacd
	s_mov_b32 s15, 0xb836b1e1
	v_pk_add_f16 v1, v34, v1
	s_mov_b32 s16, 0x7060302
	v_pk_mul_f16 v34, v25, s7
	v_pk_mul_f16 v47, v31, s15
	;; [unrolled: 1-line block ×3, first 2 shown]
	v_perm_b32 v0, v34, v0, s16
	v_pack_b32_f16 v48, v48, v47
	s_mov_b32 s4, 0x37223b76
	v_pk_add_f16 v0, v0, v48
	s_mov_b32 s15, 0x35c83b29
	v_pk_mul_f16 v49, v24, s4
	v_pk_mul_f16 v48, v32, s6
	v_pack_b32_f16 v50, v48, v49
	v_pk_mul_f16 v48, v32, s15
	v_perm_b32 v5, v48, v5, s16
	v_pk_add_f16 v5, v50, v5
	v_pk_add_f16 v0, v8, v0 op_sel:[1,0] op_sel_hi:[0,1]
	s_mov_b32 s4, 0x2de8bacd
	s_mov_b32 s6, 0xb836bbf7
	v_pk_add_f16 v0, v5, v0
	v_pk_mul_f16 v53, v26, s4
	v_pk_mul_f16 v5, v36, s10
	v_pk_mul_f16 v50, v36, s6
	v_pack_b32_f16 v5, v5, v53
	v_perm_b32 v16, v50, v16, s16
	v_pk_add_f16 v5, v5, v16
	s_mov_b32 s4, 0xb8d239e9
	s_mov_b32 s10, 0x39643a62
	v_pk_add_f16 v0, v5, v0
	v_pk_mul_f16 v55, v27, s4
	v_pk_mul_f16 v5, v37, s11
	v_pk_mul_f16 v51, v37, s10
	v_pack_b32_f16 v5, v5, v55
	v_perm_b32 v16, v51, v17, s16
	v_pk_add_f16 v5, v5, v16
	;; [unrolled: 9-line block ×5, first 2 shown]
	v_pk_add_f16 v0, v5, v0
	v_add_u32_e32 v5, 0xa00, v22
	ds_read2_b32 v[16:17], v5 offset0:64 offset1:152
	s_mov_b32 s4, 0xb4612de8
	s_mov_b32 s14, 0x3bf7bbb2
	;; [unrolled: 1-line block ×4, first 2 shown]
	s_waitcnt lgkmcnt(0)
	v_pk_add_f16 v33, v17, v16
	v_pk_add_f16 v52, v16, v17 neg_lo:[0,1] neg_hi:[0,1]
	v_pk_mul_f16 v63, v33, s4
	v_pk_mul_f16 v5, v52, s18
	;; [unrolled: 1-line block ×4, first 2 shown]
	v_pack_b32_f16 v5, v5, v63
	v_perm_b32 v64, v62, v61, s16
	v_pk_add_f16 v5, v5, v64
	v_pk_fma_f16 v64, v52, s18, v61 op_sel:[0,0,1] op_sel_hi:[1,1,0]
	v_pk_fma_f16 v61, v52, s18, v61 op_sel:[0,0,1] op_sel_hi:[1,1,0] neg_lo:[1,0,0] neg_hi:[1,0,0]
	v_bfi_b32 v64, s5, v61, v64
	v_pk_add_f16 v0, v5, v0
	v_pk_fma_f16 v5, v25, s7, v47 op_sel:[0,0,1] op_sel_hi:[1,1,0] neg_lo:[0,0,1] neg_hi:[0,0,1]
	v_pk_add_f16 v1, v64, v1
	v_pk_add_f16 v5, v8, v5 op_sel:[1,0] op_sel_hi:[0,1]
	v_pk_fma_f16 v64, v32, s15, v49 op_sel:[0,0,1] op_sel_hi:[1,1,0] neg_lo:[1,0,0] neg_hi:[1,0,0]
	v_pk_add_f16 v5, v64, v5
	v_pk_fma_f16 v64, v36, s6, v53 op_sel:[0,0,1] op_sel_hi:[1,1,0] neg_lo:[1,0,0] neg_hi:[1,0,0]
	v_pk_add_f16 v5, v64, v5
	;; [unrolled: 2-line block ×6, first 2 shown]
	v_pk_fma_f16 v64, v52, s14, v63 op_sel:[0,0,1] op_sel_hi:[1,1,0] neg_lo:[1,0,0] neg_hi:[1,0,0]
	s_movk_i32 s4, 0x58
	v_pk_add_f16 v5, v64, v5
	v_cmp_gt_u32_e32 vcc, s4, v4
	s_barrier
	s_and_saveexec_b64 s[4:5], vcc
	s_cbranch_execz .LBB0_13
; %bb.12:
	v_alignbit_b32 v47, v47, v47, 16
	v_alignbit_b32 v64, v8, v8, 16
	;; [unrolled: 1-line block ×3, first 2 shown]
	v_add_f16_e32 v34, v47, v34
	v_alignbit_b32 v53, v53, v53, 16
	v_add_f16_e32 v48, v48, v49
	v_add_f16_e32 v34, v64, v34
	v_alignbit_b32 v55, v55, v55, 16
	v_add_f16_e32 v34, v48, v34
	v_add_f16_e32 v47, v50, v53
	v_add_f16_sdwa v35, v64, v35 dst_sel:DWORD dst_unused:UNUSED_PAD src0_sel:WORD_1 src1_sel:WORD_1
	s_mov_b32 s16, 0xba62
	v_alignbit_b32 v57, v57, v57, 16
	v_add_f16_e32 v34, v47, v34
	v_add_f16_e32 v47, v51, v55
	v_add_f16_sdwa v35, v39, v35 dst_sel:DWORD dst_unused:UNUSED_PAD src0_sel:WORD_1 src1_sel:DWORD
	v_mul_f16_sdwa v53, v31, s16 dst_sel:DWORD dst_unused:UNUSED_PAD src0_sel:WORD_1 src1_sel:DWORD
	s_mov_b32 s6, 0xb8d2
	v_add_f16_e32 v34, v47, v34
	v_add_f16_e32 v47, v54, v57
	v_add_f16_sdwa v35, v42, v35 dst_sel:DWORD dst_unused:UNUSED_PAD src0_sel:WORD_1 src1_sel:DWORD
	v_fma_f16 v39, v25, s6, v53
	v_mul_f16_e32 v54, 0x3bb2, v32
	v_lshrrev_b32_e32 v42, 16, v24
	s_mov_b32 s7, 0xb461
	v_add_f16_sdwa v35, v43, v35 dst_sel:DWORD dst_unused:UNUSED_PAD src0_sel:WORD_1 src1_sel:DWORD
	v_add_f16_sdwa v39, v8, v39 dst_sel:DWORD dst_unused:UNUSED_PAD src0_sel:WORD_1 src1_sel:DWORD
	v_fma_f16 v43, v42, s7, v54
	v_add_f16_e32 v39, v43, v39
	v_mul_f16_e32 v55, 0xb5c8, v36
	v_lshrrev_b32_e32 v43, 16, v26
	s_movk_i32 s11, 0x3b76
	v_alignbit_b32 v59, v59, v59, 16
	v_add_f16_sdwa v35, v44, v35 dst_sel:DWORD dst_unused:UNUSED_PAD src0_sel:WORD_1 src1_sel:DWORD
	v_fma_f16 v44, v43, s11, v55
	v_alignbit_b32 v60, v60, v60, 16
	v_add_f16_e32 v34, v47, v34
	v_add_f16_e32 v47, v56, v59
	;; [unrolled: 1-line block ×3, first 2 shown]
	v_mul_f16_e32 v56, 0xb836, v37
	v_lshrrev_b32_e32 v44, 16, v27
	s_mov_b32 s10, 0xbacd
	v_alignbit_b32 v63, v63, v63, 16
	v_add_f16_e32 v34, v47, v34
	v_add_f16_e32 v47, v58, v60
	v_add_f16_sdwa v35, v45, v35 dst_sel:DWORD dst_unused:UNUSED_PAD src0_sel:WORD_1 src1_sel:DWORD
	v_fma_f16 v45, v44, s10, v56
	v_add_f16_e32 v34, v47, v34
	v_add_f16_e32 v47, v62, v63
	;; [unrolled: 1-line block ×3, first 2 shown]
	v_mul_f16_e32 v57, 0x3bf7, v38
	v_lshrrev_b32_e32 v45, 16, v28
	s_movk_i32 s12, 0x2de8
	v_add_f16_e32 v34, v47, v34
	v_add_f16_sdwa v35, v46, v35 dst_sel:DWORD dst_unused:UNUSED_PAD src0_sel:WORD_1 src1_sel:DWORD
	v_fma_f16 v46, v45, s12, v57
	v_mul_f16_e32 v58, 0xb964, v40
	v_lshrrev_b32_e32 v47, 16, v29
	s_movk_i32 s14, 0x39e9
	v_add_f16_e32 v39, v46, v39
	v_fma_f16 v46, v47, s14, v58
	v_mul_f16_e32 v59, 0xb1e1, v41
	v_lshrrev_b32_e32 v48, 16, v30
	s_mov_b32 s13, 0xbbdd
	v_add_f16_e32 v39, v46, v39
	v_fma_f16 v46, v48, s13, v59
	v_mul_f16_e32 v60, 0x3b29, v52
	v_lshrrev_b32_e32 v49, 16, v33
	s_movk_i32 s15, 0x3722
	v_add_f16_sdwa v35, v61, v35 dst_sel:DWORD dst_unused:UNUSED_PAD src0_sel:WORD_1 src1_sel:DWORD
	s_movk_i32 s21, 0x3bb2
	v_add_f16_e32 v39, v46, v39
	v_fma_f16 v46, v49, s15, v60
	v_lshrrev_b32_e32 v50, 16, v25
	v_mul_f16_e32 v61, 0xba62, v31
	s_mov_b32 s20, 0xb5c8
	v_add_f16_e32 v39, v46, v39
	v_fma_f16 v46, v50, s6, -v61
	v_mul_f16_sdwa v62, v32, s21 dst_sel:DWORD dst_unused:UNUSED_PAD src0_sel:WORD_1 src1_sel:DWORD
	s_mov_b32 s17, 0xb836
	v_add_f16_e32 v46, v8, v46
	v_fma_f16 v51, v24, s7, -v62
	v_mul_f16_sdwa v63, v36, s20 dst_sel:DWORD dst_unused:UNUSED_PAD src0_sel:WORD_1 src1_sel:DWORD
	s_movk_i32 s25, 0x3bf7
	v_add_f16_e32 v46, v51, v46
	v_fma_f16 v51, v26, s11, -v63
	v_mul_f16_sdwa v64, v37, s17 dst_sel:DWORD dst_unused:UNUSED_PAD src0_sel:WORD_1 src1_sel:DWORD
	s_mov_b32 s19, 0xb964
	v_add_f16_e32 v46, v51, v46
	v_fma_f16 v51, v27, s10, -v64
	v_mul_f16_sdwa v65, v38, s25 dst_sel:DWORD dst_unused:UNUSED_PAD src0_sel:WORD_1 src1_sel:DWORD
	s_mov_b32 s18, 0xb1e1
	v_add_f16_e32 v46, v51, v46
	v_fma_f16 v51, v28, s12, -v65
	v_mul_f16_sdwa v66, v40, s19 dst_sel:DWORD dst_unused:UNUSED_PAD src0_sel:WORD_1 src1_sel:DWORD
	s_movk_i32 s23, 0x3b29
	v_add_f16_e32 v46, v51, v46
	v_fma_f16 v51, v29, s14, -v66
	v_mul_f16_sdwa v67, v41, s18 dst_sel:DWORD dst_unused:UNUSED_PAD src0_sel:WORD_1 src1_sel:DWORD
	v_add_f16_e32 v46, v51, v46
	v_fma_f16 v51, v30, s13, -v67
	v_mul_f16_sdwa v68, v52, s23 dst_sel:DWORD dst_unused:UNUSED_PAD src0_sel:WORD_1 src1_sel:DWORD
	s_mov_b32 s22, 0xbbb2
	v_add_f16_e32 v46, v51, v46
	v_fma_f16 v51, v33, s15, -v68
	v_mul_f16_sdwa v69, v31, s22 dst_sel:DWORD dst_unused:UNUSED_PAD src0_sel:WORD_1 src1_sel:DWORD
	v_add_f16_e32 v46, v51, v46
	v_fma_f16 v51, v25, s7, v69
	v_mul_f16_e32 v70, 0x3836, v32
	v_add_f16_sdwa v51, v8, v51 dst_sel:DWORD dst_unused:UNUSED_PAD src0_sel:WORD_1 src1_sel:DWORD
	v_fma_f16 v71, v42, s10, v70
	v_add_f16_e32 v51, v71, v51
	v_mul_f16_e32 v71, 0x3964, v36
	v_fma_f16 v72, v43, s14, v71
	v_add_f16_e32 v51, v72, v51
	v_mul_f16_e32 v72, 0xbb29, v37
	;; [unrolled: 3-line block ×6, first 2 shown]
	v_fma_f16 v77, v49, s6, v76
	v_pk_add_f16 v9, v8, v9
	s_movk_i32 s24, 0x3836
	v_add_f16_e32 v51, v77, v51
	v_mul_f16_e32 v77, 0xbbb2, v31
	v_pk_add_f16 v9, v9, v18
	v_pk_add_f16 v9, v9, v19
	v_fma_f16 v18, v50, s7, -v77
	v_mul_f16_sdwa v19, v32, s24 dst_sel:DWORD dst_unused:UNUSED_PAD src0_sel:WORD_1 src1_sel:DWORD
	s_movk_i32 s27, 0x3964
	v_add_f16_e32 v18, v8, v18
	v_fma_f16 v78, v24, s10, -v19
	v_pk_add_f16 v9, v9, v20
	v_mul_f16_sdwa v20, v36, s27 dst_sel:DWORD dst_unused:UNUSED_PAD src0_sel:WORD_1 src1_sel:DWORD
	v_add_f16_e32 v18, v78, v18
	s_mov_b32 s26, 0xbb29
	v_pk_add_f16 v9, v9, v21
	v_fma_f16 v21, v26, s14, -v20
	v_add_f16_e32 v18, v21, v18
	v_mul_f16_sdwa v21, v37, s26 dst_sel:DWORD dst_unused:UNUSED_PAD src0_sel:WORD_1 src1_sel:DWORD
	v_fma_f16 v78, v27, s15, -v21
	v_add_f16_e32 v18, v78, v18
	v_mul_f16_sdwa v78, v38, s18 dst_sel:DWORD dst_unused:UNUSED_PAD src0_sel:WORD_1 src1_sel:DWORD
	;; [unrolled: 3-line block ×5, first 2 shown]
	v_fma_f16 v82, v33, s6, -v81
	s_mov_b32 s25, 0xbbf7
	v_add_f16_e32 v18, v82, v18
	v_mul_f16_sdwa v82, v31, s25 dst_sel:DWORD dst_unused:UNUSED_PAD src0_sel:WORD_1 src1_sel:DWORD
	v_fma_f16 v83, v25, s12, v82
	v_mul_f16_e32 v84, 0xb1e1, v32
	v_add_f16_sdwa v83, v8, v83 dst_sel:DWORD dst_unused:UNUSED_PAD src0_sel:WORD_1 src1_sel:DWORD
	v_fma_f16 v85, v42, s13, v84
	v_add_f16_e32 v83, v85, v83
	v_mul_f16_e32 v85, 0x3bb2, v36
	v_fma_f16 v86, v43, s7, v85
	v_add_f16_e32 v83, v86, v83
	v_mul_f16_e32 v86, 0x35c8, v37
	v_fma_f16 v87, v44, s11, v86
	v_add_f16_e32 v83, v87, v83
	v_mul_f16_e32 v87, 0xbb29, v38
	v_fma_f16 v88, v45, s15, v87
	v_add_f16_e32 v83, v88, v83
	v_mul_f16_e32 v88, 0xb836, v40
	v_fma_f16 v89, v47, s10, v88
	v_add_f16_e32 v83, v89, v83
	v_mul_f16_e32 v89, 0x3a62, v41
	v_fma_f16 v90, v48, s6, v89
	v_add_f16_e32 v83, v90, v83
	v_mul_f16_e32 v90, 0x3964, v52
	v_fma_f16 v91, v49, s14, v90
	v_add_f16_e32 v83, v91, v83
	v_mul_f16_e32 v91, 0xbbf7, v31
	v_fma_f16 v92, v50, s12, -v91
	v_mul_f16_sdwa v93, v32, s18 dst_sel:DWORD dst_unused:UNUSED_PAD src0_sel:WORD_1 src1_sel:DWORD
	v_add_f16_e32 v92, v8, v92
	v_fma_f16 v94, v24, s13, -v93
	v_add_f16_e32 v92, v94, v92
	v_mul_f16_sdwa v94, v36, s21 dst_sel:DWORD dst_unused:UNUSED_PAD src0_sel:WORD_1 src1_sel:DWORD
	v_fma_f16 v95, v26, s7, -v94
	s_movk_i32 s28, 0x35c8
	v_add_f16_e32 v92, v95, v92
	v_mul_f16_sdwa v95, v37, s28 dst_sel:DWORD dst_unused:UNUSED_PAD src0_sel:WORD_1 src1_sel:DWORD
	v_fma_f16 v96, v27, s11, -v95
	v_add_f16_e32 v92, v96, v92
	v_mul_f16_sdwa v96, v38, s26 dst_sel:DWORD dst_unused:UNUSED_PAD src0_sel:WORD_1 src1_sel:DWORD
	v_fma_f16 v97, v28, s15, -v96
	;; [unrolled: 3-line block ×3, first 2 shown]
	s_movk_i32 s29, 0x3a62
	v_add_f16_e32 v92, v98, v92
	v_mul_f16_sdwa v98, v41, s29 dst_sel:DWORD dst_unused:UNUSED_PAD src0_sel:WORD_1 src1_sel:DWORD
	v_fma_f16 v99, v30, s6, -v98
	v_add_f16_e32 v92, v99, v92
	v_mul_f16_sdwa v99, v52, s27 dst_sel:DWORD dst_unused:UNUSED_PAD src0_sel:WORD_1 src1_sel:DWORD
	v_fma_f16 v100, v33, s14, -v99
	v_add_f16_e32 v92, v100, v92
	v_mul_f16_sdwa v100, v31, s26 dst_sel:DWORD dst_unused:UNUSED_PAD src0_sel:WORD_1 src1_sel:DWORD
	v_fma_f16 v101, v25, s15, v100
	v_mul_f16_e32 v102, 0xba62, v32
	v_add_f16_sdwa v101, v8, v101 dst_sel:DWORD dst_unused:UNUSED_PAD src0_sel:WORD_1 src1_sel:DWORD
	v_fma_f16 v103, v42, s6, v102
	v_add_f16_e32 v101, v103, v101
	v_mul_f16_e32 v103, 0x31e1, v36
	v_fma_f16 v104, v43, s13, v103
	v_fma_f16 v53, v25, s6, -v53
	v_add_f16_e32 v101, v104, v101
	v_mul_f16_e32 v104, 0x3bb2, v37
	v_add_f16_sdwa v53, v8, v53 dst_sel:DWORD dst_unused:UNUSED_PAD src0_sel:WORD_1 src1_sel:DWORD
	v_fma_f16 v54, v42, s7, -v54
	v_fma_f16 v105, v44, s7, v104
	v_add_f16_e32 v53, v54, v53
	v_fma_f16 v54, v43, s11, -v55
	v_add_f16_e32 v101, v105, v101
	v_mul_f16_e32 v105, 0x3964, v38
	v_add_f16_e32 v53, v54, v53
	v_fma_f16 v54, v44, s10, -v56
	v_fma_f16 v106, v45, s14, v105
	v_add_f16_e32 v53, v54, v53
	v_fma_f16 v54, v45, s12, -v57
	v_add_f16_e32 v101, v106, v101
	v_mul_f16_e32 v106, 0xb5c8, v40
	v_add_f16_e32 v53, v54, v53
	;; [unrolled: 7-line block ×3, first 2 shown]
	v_fma_f16 v54, v49, s15, -v60
	v_fma_f16 v108, v48, s12, v107
	v_add_f16_e32 v53, v54, v53
	v_fma_f16 v54, v50, s6, v61
	v_add_f16_e32 v101, v108, v101
	v_mul_f16_e32 v108, 0xb836, v52
	v_add_f16_e32 v54, v8, v54
	v_fma_f16 v55, v24, s7, v62
	v_fma_f16 v109, v49, s10, v108
	v_add_f16_e32 v54, v55, v54
	v_fma_f16 v55, v26, s11, v63
	v_add_f16_e32 v101, v109, v101
	v_mul_f16_e32 v109, 0xbb29, v31
	v_add_f16_e32 v54, v55, v54
	v_fma_f16 v55, v27, s10, v64
	v_fma_f16 v110, v50, s15, -v109
	v_mul_f16_sdwa v111, v32, s16 dst_sel:DWORD dst_unused:UNUSED_PAD src0_sel:WORD_1 src1_sel:DWORD
	v_add_f16_e32 v54, v55, v54
	v_fma_f16 v55, v28, s12, v65
	v_add_f16_e32 v110, v8, v110
	v_fma_f16 v112, v24, s6, -v111
	s_movk_i32 s29, 0x31e1
	v_add_f16_e32 v54, v55, v54
	v_fma_f16 v55, v29, s14, v66
	v_add_f16_e32 v110, v112, v110
	v_mul_f16_sdwa v112, v36, s29 dst_sel:DWORD dst_unused:UNUSED_PAD src0_sel:WORD_1 src1_sel:DWORD
	v_add_f16_e32 v54, v55, v54
	v_fma_f16 v55, v30, s13, v67
	v_fma_f16 v113, v26, s13, -v112
	v_add_f16_e32 v54, v55, v54
	v_fma_f16 v55, v33, s15, v68
	v_add_f16_e32 v110, v113, v110
	v_mul_f16_sdwa v113, v37, s21 dst_sel:DWORD dst_unused:UNUSED_PAD src0_sel:WORD_1 src1_sel:DWORD
	v_add_f16_e32 v54, v55, v54
	v_fma_f16 v55, v25, s7, -v69
	v_fma_f16 v114, v27, s7, -v113
	v_add_f16_sdwa v55, v8, v55 dst_sel:DWORD dst_unused:UNUSED_PAD src0_sel:WORD_1 src1_sel:DWORD
	v_fma_f16 v56, v42, s10, -v70
	v_add_f16_e32 v110, v114, v110
	v_mul_f16_sdwa v114, v38, s27 dst_sel:DWORD dst_unused:UNUSED_PAD src0_sel:WORD_1 src1_sel:DWORD
	v_add_f16_e32 v55, v56, v55
	v_fma_f16 v56, v43, s14, -v71
	v_fma_f16 v115, v28, s14, -v114
	v_add_f16_e32 v55, v56, v55
	v_fma_f16 v56, v44, s15, -v72
	v_add_f16_e32 v110, v115, v110
	v_mul_f16_sdwa v115, v40, s20 dst_sel:DWORD dst_unused:UNUSED_PAD src0_sel:WORD_1 src1_sel:DWORD
	v_add_f16_e32 v55, v56, v55
	v_fma_f16 v56, v45, s13, -v73
	v_fma_f16 v116, v29, s11, -v115
	v_add_f16_e32 v55, v56, v55
	;; [unrolled: 7-line block ×3, first 2 shown]
	v_fma_f16 v56, v49, s6, -v76
	v_add_f16_e32 v110, v117, v110
	v_mul_f16_sdwa v117, v52, s17 dst_sel:DWORD dst_unused:UNUSED_PAD src0_sel:WORD_1 src1_sel:DWORD
	v_add_f16_e32 v55, v56, v55
	v_fma_f16 v56, v50, s7, v77
	v_fma_f16 v118, v33, s10, -v117
	v_add_f16_e32 v56, v8, v56
	v_fma_f16 v19, v24, s10, v19
	v_add_f16_e32 v110, v118, v110
	v_mul_f16_sdwa v118, v31, s19 dst_sel:DWORD dst_unused:UNUSED_PAD src0_sel:WORD_1 src1_sel:DWORD
	v_add_f16_e32 v19, v19, v56
	v_fma_f16 v20, v26, s14, v20
	v_fma_f16 v119, v25, s14, v118
	v_mul_f16_e32 v120, 0xbbf7, v32
	v_add_f16_e32 v19, v20, v19
	v_fma_f16 v20, v27, s15, v21
	v_add_f16_sdwa v119, v8, v119 dst_sel:DWORD dst_unused:UNUSED_PAD src0_sel:WORD_1 src1_sel:DWORD
	v_fma_f16 v121, v42, s12, v120
	v_add_f16_e32 v19, v20, v19
	v_fma_f16 v20, v28, s13, v78
	v_add_f16_e32 v119, v121, v119
	v_mul_f16_e32 v121, 0xba62, v36
	v_add_f16_e32 v19, v20, v19
	v_fma_f16 v20, v29, s12, v79
	v_fma_f16 v122, v43, s6, v121
	v_add_f16_e32 v19, v20, v19
	v_fma_f16 v20, v30, s11, v80
	v_add_f16_e32 v119, v122, v119
	v_mul_f16_e32 v122, 0xb1e1, v37
	v_add_f16_e32 v19, v20, v19
	v_fma_f16 v20, v33, s6, v81
	v_fma_f16 v123, v44, s13, v122
	v_add_f16_e32 v19, v20, v19
	v_fma_f16 v20, v25, s12, -v82
	v_add_f16_e32 v119, v123, v119
	v_mul_f16_e32 v123, 0x3836, v38
	v_add_f16_sdwa v20, v8, v20 dst_sel:DWORD dst_unused:UNUSED_PAD src0_sel:WORD_1 src1_sel:DWORD
	v_fma_f16 v21, v42, s13, -v84
	v_fma_f16 v124, v45, s10, v123
	v_add_f16_e32 v20, v21, v20
	v_fma_f16 v21, v43, s7, -v85
	v_add_f16_e32 v119, v124, v119
	v_mul_f16_e32 v124, 0x3bb2, v40
	v_add_f16_e32 v20, v21, v20
	v_fma_f16 v21, v44, s11, -v86
	v_fma_f16 v125, v47, s7, v124
	v_add_f16_e32 v20, v21, v20
	v_fma_f16 v21, v45, s15, -v87
	v_add_f16_e32 v119, v125, v119
	v_mul_f16_e32 v125, 0x3b29, v41
	v_add_f16_e32 v20, v21, v20
	;; [unrolled: 7-line block ×3, first 2 shown]
	v_fma_f16 v21, v49, s14, -v90
	v_fma_f16 v127, v49, s11, v126
	v_add_f16_e32 v20, v21, v20
	v_fma_f16 v21, v50, s12, v91
	v_add_f16_e32 v119, v127, v119
	v_mul_f16_e32 v127, 0xb964, v31
	v_add_f16_e32 v21, v8, v21
	v_fma_f16 v56, v24, s13, v93
	v_fma_f16 v128, v50, s14, -v127
	v_mul_f16_sdwa v129, v32, s25 dst_sel:DWORD dst_unused:UNUSED_PAD src0_sel:WORD_1 src1_sel:DWORD
	v_add_f16_e32 v21, v56, v21
	v_fma_f16 v56, v26, s7, v94
	v_add_f16_e32 v128, v8, v128
	v_fma_f16 v130, v24, s12, -v129
	v_add_f16_e32 v21, v56, v21
	v_fma_f16 v56, v27, s11, v95
	v_add_f16_e32 v128, v130, v128
	v_mul_f16_sdwa v130, v36, s16 dst_sel:DWORD dst_unused:UNUSED_PAD src0_sel:WORD_1 src1_sel:DWORD
	v_add_f16_e32 v21, v56, v21
	v_fma_f16 v56, v28, s15, v96
	v_fma_f16 v131, v26, s6, -v130
	v_add_f16_e32 v21, v56, v21
	v_fma_f16 v56, v29, s10, v97
	v_add_f16_e32 v128, v131, v128
	v_mul_f16_sdwa v131, v37, s18 dst_sel:DWORD dst_unused:UNUSED_PAD src0_sel:WORD_1 src1_sel:DWORD
	v_add_f16_e32 v21, v56, v21
	v_fma_f16 v56, v30, s6, v98
	v_fma_f16 v132, v27, s13, -v131
	v_add_f16_e32 v21, v56, v21
	v_fma_f16 v56, v33, s14, v99
	v_add_f16_e32 v128, v132, v128
	v_mul_f16_sdwa v132, v38, s24 dst_sel:DWORD dst_unused:UNUSED_PAD src0_sel:WORD_1 src1_sel:DWORD
	v_add_f16_e32 v21, v56, v21
	v_fma_f16 v56, v25, s15, -v100
	v_fma_f16 v133, v28, s10, -v132
	v_add_f16_sdwa v56, v8, v56 dst_sel:DWORD dst_unused:UNUSED_PAD src0_sel:WORD_1 src1_sel:DWORD
	v_fma_f16 v57, v42, s6, -v102
	v_add_f16_e32 v128, v133, v128
	v_mul_f16_sdwa v133, v40, s21 dst_sel:DWORD dst_unused:UNUSED_PAD src0_sel:WORD_1 src1_sel:DWORD
	v_add_f16_e32 v56, v57, v56
	v_fma_f16 v57, v43, s13, -v103
	v_fma_f16 v134, v29, s7, -v133
	v_add_f16_e32 v56, v57, v56
	v_fma_f16 v57, v44, s7, -v104
	v_add_f16_e32 v128, v134, v128
	v_mul_f16_sdwa v134, v41, s23 dst_sel:DWORD dst_unused:UNUSED_PAD src0_sel:WORD_1 src1_sel:DWORD
	v_add_f16_e32 v56, v57, v56
	v_fma_f16 v57, v45, s14, -v105
	v_fma_f16 v135, v30, s15, -v134
	v_add_f16_e32 v56, v57, v56
	;; [unrolled: 7-line block ×3, first 2 shown]
	v_fma_f16 v57, v49, s10, -v108
	v_add_f16_e32 v128, v136, v128
	v_mul_f16_sdwa v136, v31, s20 dst_sel:DWORD dst_unused:UNUSED_PAD src0_sel:WORD_1 src1_sel:DWORD
	v_add_f16_e32 v56, v57, v56
	v_fma_f16 v57, v50, s15, v109
	v_fma_f16 v137, v25, s11, v136
	v_mul_f16_e32 v138, 0xb964, v32
	v_add_f16_e32 v57, v8, v57
	v_fma_f16 v58, v24, s6, v111
	v_add_f16_sdwa v137, v8, v137 dst_sel:DWORD dst_unused:UNUSED_PAD src0_sel:WORD_1 src1_sel:DWORD
	v_fma_f16 v139, v42, s14, v138
	v_add_f16_e32 v57, v58, v57
	v_fma_f16 v58, v26, s13, v112
	v_add_f16_e32 v137, v139, v137
	v_mul_f16_e32 v139, 0xbb29, v36
	v_add_f16_e32 v57, v58, v57
	v_fma_f16 v58, v27, s7, v113
	v_fma_f16 v140, v43, s15, v139
	v_add_f16_e32 v57, v58, v57
	v_fma_f16 v58, v28, s14, v114
	v_add_f16_e32 v137, v140, v137
	v_mul_f16_e32 v140, 0xbbf7, v37
	v_add_f16_e32 v57, v58, v57
	v_fma_f16 v58, v29, s11, v115
	;; [unrolled: 7-line block ×3, first 2 shown]
	v_fma_f16 v142, v45, s7, v141
	v_add_f16_e32 v57, v58, v57
	v_fma_f16 v58, v25, s14, -v118
	v_add_f16_e32 v137, v142, v137
	v_mul_f16_e32 v142, 0xba62, v40
	v_add_f16_sdwa v58, v8, v58 dst_sel:DWORD dst_unused:UNUSED_PAD src0_sel:WORD_1 src1_sel:DWORD
	v_fma_f16 v59, v42, s12, -v120
	v_fma_f16 v143, v47, s6, v142
	v_add_f16_e32 v58, v59, v58
	v_fma_f16 v59, v43, s6, -v121
	v_add_f16_e32 v137, v143, v137
	v_mul_f16_e32 v143, 0xb836, v41
	v_add_f16_e32 v58, v59, v58
	v_fma_f16 v59, v44, s13, -v122
	v_fma_f16 v144, v48, s10, v143
	v_add_f16_e32 v58, v59, v58
	v_fma_f16 v59, v45, s10, -v123
	v_add_f16_e32 v137, v144, v137
	v_mul_f16_e32 v144, 0xb1e1, v52
	v_add_f16_e32 v58, v59, v58
	v_fma_f16 v59, v47, s7, -v124
	v_fma_f16 v145, v49, s13, v144
	v_mul_f16_e32 v31, 0xb5c8, v31
	v_add_f16_e32 v58, v59, v58
	v_fma_f16 v59, v48, s15, -v125
	v_pk_add_f16 v9, v9, v14
	v_add_f16_e32 v137, v145, v137
	v_fma_f16 v145, v50, s11, -v31
	v_mul_f16_sdwa v32, v32, s19 dst_sel:DWORD dst_unused:UNUSED_PAD src0_sel:WORD_1 src1_sel:DWORD
	v_add_f16_e32 v58, v59, v58
	v_fma_f16 v59, v49, s11, -v126
	v_pk_add_f16 v9, v9, v15
	v_add_f16_e32 v145, v8, v145
	v_fma_f16 v146, v24, s14, -v32
	v_mul_f16_sdwa v36, v36, s26 dst_sel:DWORD dst_unused:UNUSED_PAD src0_sel:WORD_1 src1_sel:DWORD
	v_add_f16_e32 v58, v59, v58
	v_fma_f16 v59, v50, s14, v127
	v_fma_f16 v25, v25, s11, -v136
	v_fma_f16 v31, v50, s11, v31
	v_pk_add_f16 v9, v9, v16
	v_add_f16_e32 v145, v146, v145
	v_fma_f16 v146, v26, s15, -v36
	v_mul_f16_sdwa v37, v37, s25 dst_sel:DWORD dst_unused:UNUSED_PAD src0_sel:WORD_1 src1_sel:DWORD
	v_add_f16_e32 v59, v8, v59
	v_fma_f16 v60, v24, s12, v129
	v_add_f16_sdwa v25, v8, v25 dst_sel:DWORD dst_unused:UNUSED_PAD src0_sel:WORD_1 src1_sel:DWORD
	v_add_f16_e32 v8, v8, v31
	v_fma_f16 v24, v24, s14, v32
	v_pk_add_f16 v9, v9, v17
	v_add_f16_e32 v145, v146, v145
	v_fma_f16 v146, v27, s12, -v37
	v_mul_f16_sdwa v38, v38, s22 dst_sel:DWORD dst_unused:UNUSED_PAD src0_sel:WORD_1 src1_sel:DWORD
	v_add_f16_e32 v8, v24, v8
	v_fma_f16 v24, v26, s15, v36
	v_pk_add_f16 v9, v9, v12
	v_add_f16_e32 v145, v146, v145
	v_fma_f16 v146, v28, s7, -v38
	v_mul_f16_sdwa v40, v40, s16 dst_sel:DWORD dst_unused:UNUSED_PAD src0_sel:WORD_1 src1_sel:DWORD
	;; [unrolled: 6-line block ×4, first 2 shown]
	v_add_f16_e32 v59, v60, v59
	v_fma_f16 v60, v26, s6, v130
	v_add_f16_e32 v8, v24, v8
	v_fma_f16 v24, v29, s6, v40
	v_pk_add_f16 v9, v9, v11
	v_add_f16_e32 v145, v146, v145
	v_fma_f16 v146, v33, s13, -v52
	v_add_f16_e32 v59, v60, v59
	v_fma_f16 v60, v27, s13, v131
	v_fma_f16 v42, v42, s14, -v138
	v_add_f16_e32 v8, v24, v8
	v_fma_f16 v24, v30, s10, v41
	v_pk_add_f16 v2, v9, v2
	v_add_f16_e32 v145, v146, v145
	v_add_f16_e32 v59, v60, v59
	v_fma_f16 v60, v28, s10, v132
	v_add_f16_e32 v25, v42, v25
	v_fma_f16 v42, v43, s15, -v139
	v_add_f16_e32 v8, v24, v8
	v_fma_f16 v24, v33, s13, v52
	v_pk_add_f16 v2, v2, v3
	v_add_f16_e32 v59, v60, v59
	v_fma_f16 v60, v29, s7, v133
	v_add_f16_e32 v25, v42, v25
	v_fma_f16 v42, v44, s12, -v140
	v_add_f16_e32 v8, v24, v8
	v_lshl_add_u32 v24, v4, 6, v22
	v_pk_add_f16 v2, v2, v23
	v_pack_b32_f16 v3, v145, v137
	v_add_f16_e32 v59, v60, v59
	v_fma_f16 v60, v30, s15, v134
	v_add_f16_e32 v25, v42, v25
	v_fma_f16 v42, v45, s7, -v141
	ds_write2_b32 v24, v2, v3 offset1:1
	v_pack_b32_f16 v2, v110, v101
	v_pack_b32_f16 v3, v128, v119
	v_add_f16_e32 v59, v60, v59
	v_fma_f16 v60, v33, s11, v135
	v_add_f16_e32 v25, v42, v25
	v_fma_f16 v42, v47, s6, -v142
	ds_write2_b32 v24, v3, v2 offset0:2 offset1:3
	v_pack_b32_f16 v2, v18, v51
	v_pack_b32_f16 v3, v92, v83
	v_add_f16_e32 v59, v60, v59
	v_add_f16_e32 v25, v42, v25
	v_fma_f16 v42, v48, s10, -v143
	ds_write2_b32 v24, v3, v2 offset0:4 offset1:5
	v_pack_b32_f16 v2, v35, v34
	v_pack_b32_f16 v3, v46, v39
	s_mov_b32 s6, 0x5040100
	v_add_f16_e32 v25, v42, v25
	v_fma_f16 v42, v49, s13, -v144
	ds_write2_b32 v24, v3, v2 offset0:6 offset1:7
	ds_write_b16_d16_hi v24, v5 offset:32
	v_pack_b32_f16 v3, v53, v19
	v_perm_b32 v2, v54, v5, s6
	v_pack_b32_f16 v11, v58, v8
	v_pack_b32_f16 v10, v56, v59
	;; [unrolled: 1-line block ×4, first 2 shown]
	v_add_f16_e32 v25, v42, v25
	ds_write_b128 v24, v[0:3] offset:34
	ds_write_b128 v24, v[8:11] offset:50
	ds_write_b16 v24, v25 offset:66
.LBB0_13:
	s_or_b64 exec, exec, s[4:5]
	s_movk_i32 s4, 0xf1
	v_mul_lo_u16_sdwa v2, v4, s4 dst_sel:DWORD dst_unused:UNUSED_PAD src0_sel:BYTE_0 src1_sel:DWORD
	v_lshrrev_b16_e32 v25, 12, v2
	v_mul_lo_u16_e32 v2, 17, v25
	v_sub_u16_e32 v26, v4, v2
	v_mov_b32_e32 v2, 7
	v_mul_u32_u24_sdwa v2, v26, v2 dst_sel:DWORD dst_unused:UNUSED_PAD src0_sel:BYTE_0 src1_sel:DWORD
	v_lshlrev_b32_e32 v2, 2, v2
	s_waitcnt lgkmcnt(0)
	s_barrier
	global_load_dwordx4 v[8:11], v2, s[8:9]
	global_load_dwordx3 v[12:14], v2, s[8:9] offset:16
	v_add_u32_e32 v17, 0x500, v22
	v_add_u32_e32 v19, 0xb00, v22
	;; [unrolled: 1-line block ×3, first 2 shown]
	ds_read2_b32 v[2:3], v22 offset1:187
	ds_read2_b32 v[15:16], v15 offset0:34 offset1:221
	ds_read2_b32 v[17:18], v17 offset0:54 offset1:241
	;; [unrolled: 1-line block ×3, first 2 shown]
	s_mov_b32 s4, 0xb9a8
	s_movk_i32 s5, 0x39a8
	s_waitcnt lgkmcnt(2)
	v_lshrrev_b32_e32 v24, 16, v16
	v_lshrrev_b32_e32 v21, 16, v3
	s_waitcnt lgkmcnt(1)
	v_lshrrev_b32_e32 v27, 16, v17
	v_lshrrev_b32_e32 v28, 16, v18
	;; [unrolled: 3-line block ×3, first 2 shown]
	v_lshrrev_b32_e32 v31, 16, v15
	v_lshrrev_b32_e32 v23, 16, v2
	s_waitcnt vmcnt(0)
	s_barrier
	v_mul_f16_sdwa v32, v8, v21 dst_sel:DWORD dst_unused:UNUSED_PAD src0_sel:WORD_1 src1_sel:DWORD
	v_mul_f16_sdwa v33, v8, v3 dst_sel:DWORD dst_unused:UNUSED_PAD src0_sel:WORD_1 src1_sel:DWORD
	;; [unrolled: 1-line block ×12, first 2 shown]
	v_mul_f16_sdwa v44, v24, v14 dst_sel:DWORD dst_unused:UNUSED_PAD src0_sel:DWORD src1_sel:WORD_1
	v_mul_f16_sdwa v45, v16, v14 dst_sel:DWORD dst_unused:UNUSED_PAD src0_sel:DWORD src1_sel:WORD_1
	v_fma_f16 v3, v8, v3, -v32
	v_fma_f16 v8, v8, v21, v33
	v_fma_f16 v17, v9, v17, -v34
	v_fma_f16 v9, v9, v27, v35
	;; [unrolled: 2-line block ×7, first 2 shown]
	v_sub_f16_e32 v11, v23, v11
	v_sub_f16_e32 v13, v9, v13
	v_sub_f16_e32 v12, v8, v12
	v_sub_f16_e32 v14, v10, v14
	v_sub_f16_e32 v19, v2, v19
	v_sub_f16_e32 v15, v17, v15
	v_sub_f16_e32 v20, v3, v20
	v_sub_f16_e32 v16, v18, v16
	v_fma_f16 v21, v23, 2.0, -v11
	v_fma_f16 v9, v9, 2.0, -v13
	;; [unrolled: 1-line block ×8, first 2 shown]
	v_sub_f16_e32 v13, v19, v13
	v_add_f16_e32 v15, v11, v15
	v_sub_f16_e32 v14, v20, v14
	v_add_f16_e32 v23, v12, v16
	v_sub_f16_e32 v27, v21, v9
	v_sub_f16_e32 v10, v8, v10
	;; [unrolled: 1-line block ×3, first 2 shown]
	v_fma_f16 v19, v19, 2.0, -v13
	v_fma_f16 v11, v11, 2.0, -v15
	v_sub_f16_e32 v28, v3, v18
	v_fma_f16 v18, v20, 2.0, -v14
	v_fma_f16 v9, v12, 2.0, -v23
	;; [unrolled: 1-line block ×4, first 2 shown]
	v_fma_f16 v20, v18, s4, v19
	v_fma_f16 v21, v9, s4, v11
	v_sub_f16_e32 v17, v12, v16
	v_sub_f16_e32 v10, v24, v10
	v_fma_f16 v2, v2, 2.0, -v24
	v_fma_f16 v3, v3, 2.0, -v28
	;; [unrolled: 1-line block ×3, first 2 shown]
	v_fma_f16 v9, v9, s4, v20
	v_fma_f16 v18, v18, s5, v21
	v_fma_f16 v12, v24, 2.0, -v10
	v_fma_f16 v24, v23, s5, v15
	v_sub_f16_e32 v8, v2, v3
	v_fma_f16 v3, v19, 2.0, -v9
	v_fma_f16 v19, v11, 2.0, -v18
	v_fma_f16 v11, v14, s5, v13
	v_fma_f16 v24, v14, s5, v24
	;; [unrolled: 1-line block ×3, first 2 shown]
	v_fma_f16 v23, v15, 2.0, -v24
	v_mov_b32_e32 v15, 2
	v_fma_f16 v2, v2, 2.0, -v8
	v_add_f16_e32 v20, v27, v28
	v_mul_u32_u24_e32 v14, 0x220, v25
	v_lshlrev_b32_sdwa v15, v15, v26 dst_sel:DWORD dst_unused:UNUSED_PAD src0_sel:DWORD src1_sel:BYTE_0
	v_fma_f16 v21, v27, 2.0, -v20
	v_fma_f16 v13, v13, 2.0, -v11
	v_add3_u32 v14, 0, v14, v15
	v_pack_b32_f16 v15, v2, v16
	v_pack_b32_f16 v25, v3, v19
	ds_write2_b32 v14, v15, v25 offset1:17
	v_pack_b32_f16 v15, v12, v21
	v_pack_b32_f16 v25, v13, v23
	ds_write2_b32 v14, v15, v25 offset0:34 offset1:51
	v_pack_b32_f16 v15, v8, v17
	v_pack_b32_f16 v25, v9, v18
	ds_write2_b32 v14, v15, v25 offset0:68 offset1:85
	v_pack_b32_f16 v15, v10, v20
	v_pack_b32_f16 v25, v11, v24
	s_movk_i32 s4, 0x88
	ds_write2_b32 v14, v15, v25 offset0:102 offset1:119
	v_cmp_gt_u32_e32 vcc, s4, v4
	v_lshrrev_b32_e32 v15, 16, v0
	s_waitcnt lgkmcnt(0)
	s_barrier
	s_and_saveexec_b64 s[4:5], vcc
	s_cbranch_execz .LBB0_15
; %bb.14:
	v_add_u32_e32 v0, 0x400, v22
	ds_read2_b32 v[2:3], v22 offset1:136
	v_add_u32_e32 v1, 0x1000, v22
	ds_read2_b32 v[12:13], v0 offset0:16 offset1:152
	ds_read2_b32 v[14:15], v1 offset0:64 offset1:200
	v_add_u32_e32 v0, 0x800, v22
	ds_read2_b32 v[8:9], v0 offset0:32 offset1:168
	v_add_u32_e32 v0, 0xc00, v22
	ds_read2_b32 v[10:11], v0 offset0:48 offset1:184
	ds_read_b32 v1, v22 offset:5440
	s_waitcnt lgkmcnt(5)
	v_lshrrev_b32_e32 v16, 16, v2
	s_waitcnt lgkmcnt(3)
	v_lshrrev_b32_e32 v0, 16, v14
	v_lshrrev_b32_e32 v19, 16, v3
	;; [unrolled: 1-line block ×4, first 2 shown]
	s_waitcnt lgkmcnt(2)
	v_lshrrev_b32_e32 v17, 16, v8
	v_lshrrev_b32_e32 v18, 16, v9
	s_waitcnt lgkmcnt(1)
	v_lshrrev_b32_e32 v20, 16, v10
	v_lshrrev_b32_e32 v24, 16, v11
	s_waitcnt lgkmcnt(0)
	v_alignbit_b32 v5, v14, v1, 16
	v_alignbit_b32 v1, v1, v15, 16
.LBB0_15:
	s_or_b64 exec, exec, s[4:5]
	s_barrier
	s_and_saveexec_b64 s[4:5], vcc
	s_cbranch_execz .LBB0_17
; %bb.16:
	v_add_u32_e32 v14, 0xffffff78, v4
	v_cndmask_b32_e32 v14, v14, v4, vcc
	v_mul_i32_i24_e32 v25, 10, v14
	v_mov_b32_e32 v26, 0
	v_lshlrev_b64 v[25:26], 2, v[25:26]
	v_mov_b32_e32 v14, s9
	v_add_co_u32_e32 v33, vcc, s8, v25
	v_addc_co_u32_e32 v34, vcc, v14, v26, vcc
	global_load_dwordx2 v[35:36], v[33:34], off offset:508
	global_load_dwordx4 v[25:28], v[33:34], off offset:476
	global_load_dwordx4 v[29:32], v[33:34], off offset:492
	v_lshrrev_b32_e32 v14, 16, v1
	v_lshrrev_b32_e32 v33, 16, v5
	s_movk_i32 s13, 0x3beb
	s_mov_b32 s14, 0xb482
	s_mov_b32 s16, 0xbb47
	s_movk_i32 s17, 0x3853
	s_mov_b32 s6, 0xb08e
	s_movk_i32 s18, 0x3a0c
	;; [unrolled: 2-line block ×3, first 2 shown]
	s_movk_i32 s11, 0x3abb
	s_mov_b32 s15, 0xbbeb
	s_mov_b32 s12, 0xb93d
	s_movk_i32 s19, 0x3482
	s_movk_i32 s20, 0x3b47
	s_mov_b32 s21, 0xb853
	s_mov_b32 s22, 0xba0c
	s_waitcnt vmcnt(2)
	v_mul_f16_sdwa v34, v14, v36 dst_sel:DWORD dst_unused:UNUSED_PAD src0_sel:DWORD src1_sel:WORD_1
	s_waitcnt vmcnt(1)
	v_mul_f16_sdwa v37, v3, v25 dst_sel:DWORD dst_unused:UNUSED_PAD src0_sel:DWORD src1_sel:WORD_1
	v_mul_f16_sdwa v38, v19, v25 dst_sel:DWORD dst_unused:UNUSED_PAD src0_sel:DWORD src1_sel:WORD_1
	;; [unrolled: 1-line block ×6, first 2 shown]
	v_fma_f16 v5, v5, v36, v34
	v_fma_f16 v19, v19, v25, v37
	v_mul_f16_sdwa v43, v1, v35 dst_sel:DWORD dst_unused:UNUSED_PAD src0_sel:DWORD src1_sel:WORD_1
	s_waitcnt vmcnt(0)
	v_mul_f16_sdwa v44, v33, v32 dst_sel:DWORD dst_unused:UNUSED_PAD src0_sel:DWORD src1_sel:WORD_1
	v_mul_f16_sdwa v45, v13, v27 dst_sel:DWORD dst_unused:UNUSED_PAD src0_sel:DWORD src1_sel:WORD_1
	v_mul_f16_sdwa v46, v23, v27 dst_sel:DWORD dst_unused:UNUSED_PAD src0_sel:DWORD src1_sel:WORD_1
	v_mul_f16_sdwa v49, v8, v28 dst_sel:DWORD dst_unused:UNUSED_PAD src0_sel:DWORD src1_sel:WORD_1
	v_mul_f16_sdwa v50, v17, v28 dst_sel:DWORD dst_unused:UNUSED_PAD src0_sel:DWORD src1_sel:WORD_1
	v_fma_f16 v3, v3, v25, -v38
	v_fma_f16 v14, v14, v36, -v39
	v_fma_f16 v1, v1, v35, v40
	v_fma_f16 v21, v21, v26, v41
	v_fma_f16 v12, v12, v26, -v42
	v_add_f16_e32 v26, v19, v5
	v_mul_f16_sdwa v47, v0, v32 dst_sel:DWORD dst_unused:UNUSED_PAD src0_sel:DWORD src1_sel:WORD_1
	v_mul_f16_sdwa v48, v11, v31 dst_sel:DWORD dst_unused:UNUSED_PAD src0_sel:DWORD src1_sel:WORD_1
	;; [unrolled: 1-line block ×6, first 2 shown]
	v_fma_f16 v15, v15, v35, -v43
	v_fma_f16 v0, v0, v32, v44
	v_fma_f16 v23, v23, v27, v45
	v_fma_f16 v13, v13, v27, -v46
	v_fma_f16 v17, v17, v28, v49
	v_fma_f16 v8, v8, v28, -v50
	v_sub_f16_e32 v27, v3, v14
	v_add_f16_e32 v28, v21, v1
	v_mul_f16_e32 v38, 0xb08e, v26
	v_mul_f16_sdwa v51, v24, v31 dst_sel:DWORD dst_unused:UNUSED_PAD src0_sel:DWORD src1_sel:WORD_1
	v_fma_f16 v25, v33, v32, -v47
	v_fma_f16 v24, v24, v31, v48
	v_fma_f16 v20, v20, v30, v52
	;; [unrolled: 1-line block ×3, first 2 shown]
	v_fma_f16 v9, v9, v29, -v54
	v_fma_f16 v10, v10, v30, -v55
	v_sub_f16_e32 v29, v12, v15
	v_add_f16_e32 v30, v23, v0
	v_mul_f16_e32 v39, 0xbbad, v28
	v_fma_f16 v44, v27, s13, v38
	v_fma_f16 v11, v11, v31, -v51
	v_sub_f16_e32 v31, v13, v25
	v_add_f16_e32 v32, v17, v24
	v_mul_f16_e32 v40, 0x36a6, v30
	v_fma_f16 v45, v29, s14, v39
	v_add_f16_e32 v44, v16, v44
	v_sub_f16_e32 v33, v8, v11
	v_add_f16_e32 v34, v18, v20
	v_sub_f16_e32 v37, v19, v5
	v_mul_f16_e32 v41, 0x3abb, v32
	v_fma_f16 v46, v31, s16, v40
	v_add_f16_e32 v44, v45, v44
	v_sub_f16_e32 v35, v9, v10
	v_add_f16_e32 v36, v3, v14
	v_mul_f16_e32 v42, 0xb93d, v34
	v_mul_f16_e32 v43, 0xbbeb, v37
	v_fma_f16 v47, v33, s17, v41
	v_add_f16_e32 v44, v46, v44
	v_sub_f16_e32 v46, v21, v1
	v_fma_f16 v48, v35, s18, v42
	v_fma_f16 v49, v36, s6, v43
	v_add_f16_e32 v44, v47, v44
	v_add_f16_e32 v45, v12, v15
	v_mul_f16_e32 v47, 0x3482, v46
	v_add_f16_e32 v49, v2, v49
	v_add_f16_e32 v44, v48, v44
	v_fma_f16 v48, v45, s7, v47
	v_sub_f16_e32 v50, v23, v0
	v_add_f16_e32 v48, v48, v49
	v_add_f16_e32 v49, v13, v25
	v_mul_f16_e32 v51, 0x3b47, v50
	v_fma_f16 v52, v49, s10, v51
	v_sub_f16_e32 v53, v17, v24
	v_add_f16_e32 v48, v52, v48
	v_add_f16_e32 v52, v8, v11
	v_mul_f16_e32 v54, 0xb853, v53
	v_fma_f16 v55, v52, s11, v54
	v_sub_f16_e32 v56, v18, v20
	v_add_f16_e32 v48, v55, v48
	v_add_f16_e32 v55, v9, v10
	v_mul_f16_e32 v57, 0xba0c, v56
	v_fma_f16 v38, v27, s15, v38
	v_fma_f16 v58, v55, s12, v57
	v_add_f16_e32 v38, v16, v38
	v_fma_f16 v39, v29, s19, v39
	v_add_f16_e32 v48, v58, v48
	v_mul_f16_e32 v58, 0xb93d, v26
	v_add_f16_e32 v38, v39, v38
	v_fma_f16 v39, v31, s20, v40
	v_fma_f16 v59, v27, s18, v58
	v_mul_f16_e32 v60, 0xb08e, v28
	v_add_f16_e32 v38, v39, v38
	v_fma_f16 v39, v33, s21, v41
	v_add_f16_e32 v59, v16, v59
	v_fma_f16 v61, v29, s15, v60
	;; [unrolled: 2-line block ×3, first 2 shown]
	v_add_f16_e32 v59, v61, v59
	v_mul_f16_e32 v61, 0x3abb, v30
	v_add_f16_e32 v38, v39, v38
	v_fma_f16 v39, v36, s6, -v43
	v_fma_f16 v62, v31, s17, v61
	v_add_f16_e32 v39, v2, v39
	v_fma_f16 v40, v45, s7, -v47
	v_add_f16_e32 v59, v62, v59
	v_mul_f16_e32 v62, 0xbbad, v32
	v_add_f16_e32 v39, v40, v39
	v_fma_f16 v40, v49, s10, -v51
	v_fma_f16 v63, v33, s19, v62
	v_add_f16_e32 v39, v40, v39
	v_fma_f16 v40, v52, s11, -v54
	v_add_f16_e32 v59, v63, v59
	v_mul_f16_e32 v63, 0x36a6, v34
	v_add_f16_e32 v39, v40, v39
	v_fma_f16 v40, v55, s12, -v57
	v_add_f16_e32 v3, v2, v3
	v_fma_f16 v64, v35, s16, v63
	v_fma_f16 v58, v27, s22, v58
	v_add_f16_e32 v39, v40, v39
	v_mul_f16_e32 v40, 0xbb47, v27
	v_add_f16_e32 v3, v3, v12
	v_add_f16_e32 v59, v64, v59
	v_mul_f16_e32 v64, 0xba0c, v37
	v_add_f16_e32 v58, v16, v58
	v_fma_f16 v60, v29, s13, v60
	v_fma_f16 v41, v26, s10, v40
	v_mul_f16_e32 v42, 0xba0c, v29
	v_add_f16_e32 v3, v3, v13
	v_fma_f16 v65, v36, s12, v64
	v_mul_f16_e32 v66, 0x3beb, v46
	v_add_f16_e32 v58, v60, v58
	v_fma_f16 v60, v31, s21, v61
	v_add_f16_e32 v41, v16, v41
	v_fma_f16 v43, v28, s12, v42
	v_add_f16_e32 v3, v3, v8
	v_add_f16_e32 v8, v16, v19
	;; [unrolled: 1-line block ×3, first 2 shown]
	v_fma_f16 v67, v45, s6, v66
	v_add_f16_e32 v58, v60, v58
	v_fma_f16 v60, v33, s14, v62
	v_add_f16_e32 v41, v43, v41
	v_mul_f16_e32 v43, 0x3482, v31
	v_add_f16_e32 v8, v8, v21
	v_add_f16_e32 v65, v67, v65
	v_mul_f16_e32 v67, 0xb853, v50
	v_add_f16_e32 v58, v60, v58
	v_fma_f16 v60, v35, s20, v63
	v_fma_f16 v47, v30, s7, v43
	v_add_f16_e32 v8, v8, v23
	v_fma_f16 v68, v49, s11, v67
	v_add_f16_e32 v58, v60, v58
	v_fma_f16 v60, v36, s12, -v64
	v_add_f16_e32 v41, v47, v41
	v_mul_f16_e32 v47, 0x3beb, v33
	v_add_f16_e32 v8, v8, v17
	v_add_f16_e32 v65, v68, v65
	v_mul_f16_e32 v68, 0xb482, v53
	v_add_f16_e32 v60, v2, v60
	v_fma_f16 v61, v45, s6, -v66
	v_fma_f16 v51, v32, s6, v47
	v_add_f16_e32 v8, v8, v18
	v_fma_f16 v69, v52, s7, v68
	v_add_f16_e32 v60, v61, v60
	v_fma_f16 v61, v49, s11, -v67
	v_add_f16_e32 v41, v51, v41
	v_mul_f16_e32 v51, 0x3853, v35
	v_add_f16_e32 v8, v8, v20
	v_add_f16_e32 v65, v69, v65
	v_mul_f16_e32 v69, 0x3b47, v56
	v_add_f16_e32 v60, v61, v60
	v_fma_f16 v61, v52, s7, -v68
	;; [unrolled: 12-line block ×3, first 2 shown]
	v_mul_f16_e32 v61, 0xba0c, v46
	v_add_f16_e32 v0, v0, v1
	v_fma_f16 v1, v26, s10, -v40
	v_fma_f16 v71, v27, s19, v70
	v_mul_f16_e32 v72, 0x3abb, v28
	v_add_f16_e32 v57, v2, v57
	v_fma_f16 v62, v45, s12, -v61
	v_add_f16_e32 v0, v0, v5
	v_add_f16_e32 v1, v16, v1
	v_fma_f16 v5, v28, s12, -v42
	v_add_f16_e32 v71, v16, v71
	v_fma_f16 v73, v29, s21, v72
	v_add_f16_e32 v57, v62, v57
	v_mul_f16_e32 v62, 0x3482, v50
	v_add_f16_e32 v1, v5, v1
	v_fma_f16 v5, v30, s7, -v43
	v_add_f16_e32 v71, v73, v71
	v_mul_f16_e32 v73, 0xb93d, v30
	v_fma_f16 v63, v49, s7, -v62
	v_add_f16_e32 v1, v5, v1
	v_fma_f16 v5, v32, s6, -v47
	v_fma_f16 v74, v31, s18, v73
	v_add_f16_e32 v57, v63, v57
	v_mul_f16_e32 v63, 0x3beb, v53
	v_add_f16_e32 v1, v5, v1
	v_fma_f16 v5, v34, s11, -v51
	v_add_f16_e32 v71, v74, v71
	v_mul_f16_e32 v74, 0x36a6, v32
	v_fma_f16 v64, v52, s6, -v63
	v_add_f16_e32 v1, v5, v1
	v_fma_f16 v5, v36, s10, v54
	v_fma_f16 v75, v33, s16, v74
	v_add_f16_e32 v57, v64, v57
	v_mul_f16_e32 v64, 0x3853, v56
	v_add_f16_e32 v5, v2, v5
	v_fma_f16 v8, v45, s12, v61
	v_add_f16_e32 v71, v75, v71
	v_mul_f16_e32 v75, 0xb08e, v34
	v_fma_f16 v70, v27, s14, v70
	v_fma_f16 v66, v55, s11, -v64
	v_mul_f16_e32 v27, 0xb853, v27
	v_add_f16_e32 v5, v8, v5
	v_fma_f16 v8, v49, s7, v62
	v_fma_f16 v76, v35, s13, v75
	v_add_f16_e32 v70, v16, v70
	v_fma_f16 v72, v29, s17, v72
	v_add_f16_e32 v57, v66, v57
	v_fma_f16 v66, v26, s11, v27
	v_mul_f16_e32 v29, 0xbb47, v29
	v_add_f16_e32 v5, v8, v5
	v_fma_f16 v8, v52, s6, v63
	v_add_f16_e32 v71, v76, v71
	v_mul_f16_e32 v76, 0xb482, v37
	v_add_f16_e32 v70, v72, v70
	v_fma_f16 v72, v31, s22, v73
	v_add_f16_e32 v66, v16, v66
	v_fma_f16 v67, v28, s10, v29
	v_mul_f16_e32 v31, 0xbbeb, v31
	v_add_f16_e32 v5, v8, v5
	v_fma_f16 v8, v55, s11, v64
	v_fma_f16 v77, v36, s7, v76
	v_mul_f16_e32 v78, 0x3853, v46
	v_add_f16_e32 v70, v72, v70
	v_fma_f16 v72, v33, s20, v74
	v_add_f16_e32 v66, v67, v66
	v_fma_f16 v67, v30, s6, v31
	v_mul_f16_e32 v33, 0xba0c, v33
	v_add_f16_e32 v5, v8, v5
	v_fma_f16 v8, v26, s11, -v27
	v_add_f16_e32 v77, v2, v77
	v_fma_f16 v79, v45, s11, v78
	v_add_f16_e32 v70, v72, v70
	v_fma_f16 v72, v35, s15, v75
	v_add_f16_e32 v66, v67, v66
	v_fma_f16 v67, v32, s12, v33
	v_mul_f16_e32 v35, 0xb482, v35
	v_add_f16_e32 v3, v3, v9
	v_add_f16_e32 v8, v16, v8
	v_fma_f16 v9, v28, s10, -v29
	v_add_f16_e32 v77, v79, v77
	v_mul_f16_e32 v79, 0xba0c, v50
	v_add_f16_e32 v66, v67, v66
	v_fma_f16 v67, v34, s7, v35
	v_mul_f16_e32 v37, 0xb853, v37
	v_add_f16_e32 v8, v9, v8
	v_fma_f16 v9, v30, s6, -v31
	v_fma_f16 v80, v49, s12, v79
	v_add_f16_e32 v66, v67, v66
	v_fma_f16 v67, v36, s11, -v37
	v_mul_f16_e32 v46, 0xbb47, v46
	v_add_f16_e32 v8, v9, v8
	v_fma_f16 v9, v32, s12, -v33
	v_add_f16_e32 v77, v80, v77
	v_mul_f16_e32 v80, 0x3b47, v53
	v_add_f16_e32 v67, v2, v67
	v_fma_f16 v68, v45, s10, -v46
	v_mul_f16_e32 v50, 0xbbeb, v50
	v_add_f16_e32 v3, v3, v10
	v_add_f16_e32 v8, v9, v8
	v_fma_f16 v9, v34, s7, -v35
	v_fma_f16 v81, v52, s10, v80
	v_add_f16_e32 v70, v72, v70
	v_fma_f16 v72, v36, s7, -v76
	v_add_f16_e32 v67, v68, v67
	v_fma_f16 v68, v49, s6, -v50
	v_mul_f16_e32 v53, 0xba0c, v53
	v_add_f16_e32 v3, v3, v11
	v_add_f16_e32 v8, v9, v8
	v_fma_f16 v9, v36, s11, v37
	v_add_f16_e32 v77, v81, v77
	v_mul_f16_e32 v81, 0xbbeb, v56
	v_add_f16_e32 v72, v2, v72
	v_fma_f16 v73, v45, s11, -v78
	v_add_f16_e32 v67, v68, v67
	v_fma_f16 v68, v52, s12, -v53
	v_mul_f16_e32 v56, 0xb482, v56
	v_add_f16_e32 v3, v3, v25
	v_add_f16_e32 v2, v2, v9
	v_fma_f16 v9, v45, s10, v46
	v_add_f16_e32 v72, v73, v72
	v_fma_f16 v73, v49, s12, -v79
	v_add_f16_e32 v67, v68, v67
	v_fma_f16 v68, v55, s7, -v56
	v_add_f16_e32 v3, v3, v15
	v_add_f16_e32 v2, v9, v2
	v_fma_f16 v9, v49, s6, v50
	v_add_f16_e32 v72, v73, v72
	v_fma_f16 v73, v52, s10, -v80
	v_add_f16_e32 v67, v68, v67
	v_add_f16_e32 v3, v3, v14
	;; [unrolled: 1-line block ×3, first 2 shown]
	v_fma_f16 v9, v52, s12, v53
	v_add_f16_e32 v72, v73, v72
	v_fma_f16 v73, v55, s6, -v81
	v_add_f16_e32 v2, v9, v2
	v_fma_f16 v9, v55, s7, v56
	v_pack_b32_f16 v0, v3, v0
	v_pack_b32_f16 v3, v67, v66
	v_fma_f16 v82, v55, s6, v81
	v_add_f16_e32 v72, v73, v72
	v_add_f16_e32 v2, v9, v2
	ds_write2_b32 v22, v0, v3 offset1:136
	v_pack_b32_f16 v0, v57, v41
	v_pack_b32_f16 v3, v39, v38
	v_add_u32_e32 v9, 0x400, v22
	v_add_f16_e32 v77, v82, v77
	ds_write2_b32 v9, v0, v3 offset0:16 offset1:152
	v_pack_b32_f16 v0, v60, v58
	v_pack_b32_f16 v3, v72, v70
	v_add_u32_e32 v9, 0x800, v22
	ds_write2_b32 v9, v0, v3 offset0:32 offset1:168
	v_pack_b32_f16 v0, v77, v71
	v_pack_b32_f16 v3, v65, v59
	v_add_u32_e32 v9, 0xc00, v22
	ds_write2_b32 v9, v0, v3 offset0:48 offset1:184
	v_pack_b32_f16 v0, v48, v44
	v_pack_b32_f16 v1, v5, v1
	v_add_u32_e32 v3, 0x1000, v22
	ds_write2_b32 v3, v0, v1 offset0:64 offset1:200
	v_pack_b32_f16 v0, v2, v8
	ds_write_b32 v22, v0 offset:5440
.LBB0_17:
	s_or_b64 exec, exec, s[4:5]
	s_waitcnt lgkmcnt(0)
	s_barrier
	ds_read_b32 v10, v22
	s_add_u32 s6, s8, 0x171c
	v_lshlrev_b32_e32 v0, 2, v4
	s_addc_u32 s7, s9, 0
	v_sub_u32_e32 v2, 0, v0
	v_cmp_ne_u32_e32 vcc, 0, v4
                                        ; implicit-def: $vgpr9
                                        ; implicit-def: $vgpr3
                                        ; implicit-def: $vgpr8
                                        ; implicit-def: $vgpr0_vgpr1
	s_and_saveexec_b64 s[4:5], vcc
	s_xor_b64 s[4:5], exec, s[4:5]
	s_cbranch_execz .LBB0_19
; %bb.18:
	v_mov_b32_e32 v5, 0
	v_lshlrev_b64 v[0:1], 2, v[4:5]
	v_mov_b32_e32 v3, s7
	v_add_co_u32_e32 v0, vcc, s6, v0
	v_addc_co_u32_e32 v1, vcc, v3, v1, vcc
	global_load_dword v0, v[0:1], off
	ds_read_b32 v1, v2 offset:5984
	s_mov_b32 s8, 0xffff
	s_waitcnt lgkmcnt(0)
	v_pk_add_f16 v3, v10, v1 neg_lo:[0,1] neg_hi:[0,1]
	v_pk_add_f16 v1, v1, v10
	v_bfi_b32 v8, s8, v3, v1
	v_bfi_b32 v1, s8, v1, v3
	v_pk_mul_f16 v3, v8, 0.5 op_sel_hi:[1,0]
	v_pk_mul_f16 v8, v1, 0.5 op_sel_hi:[1,0]
                                        ; implicit-def: $vgpr10
	s_waitcnt vmcnt(0)
	v_pk_mul_f16 v9, v0, v3 op_sel:[1,0]
	v_pk_mul_f16 v0, v0, v3 op_sel_hi:[0,1]
	v_pk_fma_f16 v1, v1, 0.5, v9 op_sel_hi:[1,0,1]
	v_sub_f16_e32 v3, v8, v9
	v_sub_f16_sdwa v8, v9, v8 dst_sel:DWORD dst_unused:UNUSED_PAD src0_sel:WORD_1 src1_sel:WORD_1
	v_pk_add_f16 v9, v1, v0 op_sel:[0,1] op_sel_hi:[1,0]
	v_pk_add_f16 v1, v1, v0 op_sel:[0,1] op_sel_hi:[1,0] neg_lo:[0,1] neg_hi:[0,1]
	v_sub_f16_sdwa v3, v3, v0 dst_sel:DWORD dst_unused:UNUSED_PAD src0_sel:DWORD src1_sel:WORD_1
	v_sub_f16_e32 v8, v8, v0
	v_bfi_b32 v9, s8, v9, v1
	v_mov_b32_e32 v0, v4
	v_mov_b32_e32 v1, v5
.LBB0_19:
	s_andn2_saveexec_b64 s[4:5], s[4:5]
	s_cbranch_execz .LBB0_21
; %bb.20:
	v_mov_b32_e32 v8, 0
	ds_read_u16 v5, v8 offset:2994
	s_waitcnt lgkmcnt(1)
	v_alignbit_b32 v9, s0, v10, 16
	v_mov_b32_e32 v0, 0
	v_pk_add_f16 v9, v9, v10
	v_sub_f16_sdwa v3, v10, v10 dst_sel:DWORD dst_unused:UNUSED_PAD src0_sel:DWORD src1_sel:WORD_1
	v_mov_b32_e32 v1, 0
	s_waitcnt lgkmcnt(0)
	v_xor_b32_e32 v5, 0x8000, v5
	v_pack_b32_f16 v9, v9, 0
	ds_write_b16 v8, v5 offset:2994
.LBB0_21:
	s_or_b64 exec, exec, s[4:5]
	v_lshlrev_b64 v[0:1], 2, v[0:1]
	v_mov_b32_e32 v5, s7
	s_waitcnt lgkmcnt(0)
	v_add_co_u32_e32 v10, vcc, s6, v0
	v_addc_co_u32_e32 v11, vcc, v5, v1, vcc
	global_load_dword v5, v[10:11], off offset:748
	global_load_dword v12, v[10:11], off offset:1496
	;; [unrolled: 1-line block ×3, first 2 shown]
	ds_write_b16 v2, v8 offset:5986
	ds_write_b32 v22, v9
	ds_write_b16 v2, v3 offset:5984
	ds_read_b32 v3, v22 offset:748
	ds_read_b32 v8, v2 offset:5236
	s_mov_b32 s4, 0xffff
	s_waitcnt lgkmcnt(0)
	v_pk_add_f16 v9, v3, v8 neg_lo:[0,1] neg_hi:[0,1]
	v_pk_add_f16 v3, v3, v8
	v_bfi_b32 v8, s4, v9, v3
	v_bfi_b32 v3, s4, v3, v9
	v_pk_mul_f16 v8, v8, 0.5 op_sel_hi:[1,0]
	v_pk_mul_f16 v9, v3, 0.5 op_sel_hi:[1,0]
	s_waitcnt vmcnt(2)
	v_pk_mul_f16 v10, v5, v8 op_sel:[1,0]
	v_pk_mul_f16 v5, v5, v8 op_sel_hi:[0,1]
	v_pk_fma_f16 v3, v3, 0.5, v10 op_sel_hi:[1,0,1]
	v_sub_f16_e32 v8, v9, v10
	v_sub_f16_sdwa v9, v10, v9 dst_sel:DWORD dst_unused:UNUSED_PAD src0_sel:WORD_1 src1_sel:WORD_1
	v_pk_add_f16 v10, v3, v5 op_sel:[0,1] op_sel_hi:[1,0]
	v_pk_add_f16 v3, v3, v5 op_sel:[0,1] op_sel_hi:[1,0] neg_lo:[0,1] neg_hi:[0,1]
	v_sub_f16_sdwa v8, v8, v5 dst_sel:DWORD dst_unused:UNUSED_PAD src0_sel:DWORD src1_sel:WORD_1
	v_sub_f16_e32 v5, v9, v5
	v_bfi_b32 v3, s4, v10, v3
	ds_write_b16 v2, v5 offset:5238
	ds_write_b32 v22, v3 offset:748
	ds_write_b16 v2, v8 offset:5236
	ds_read_b32 v3, v22 offset:1496
	ds_read_b32 v5, v2 offset:4488
	s_waitcnt lgkmcnt(0)
	v_pk_add_f16 v8, v3, v5 neg_lo:[0,1] neg_hi:[0,1]
	v_pk_add_f16 v3, v3, v5
	v_bfi_b32 v5, s4, v8, v3
	v_bfi_b32 v3, s4, v3, v8
	v_pk_mul_f16 v5, v5, 0.5 op_sel_hi:[1,0]
	v_pk_mul_f16 v3, v3, 0.5 op_sel_hi:[1,0]
	s_waitcnt vmcnt(1)
	v_pk_fma_f16 v8, v12, v5, v3 op_sel:[1,0,0]
	v_pk_mul_f16 v9, v12, v5 op_sel_hi:[0,1]
	v_pk_fma_f16 v10, v12, v5, v3 op_sel:[1,0,0] neg_lo:[1,0,0] neg_hi:[1,0,0]
	v_pk_fma_f16 v3, v12, v5, v3 op_sel:[1,0,0] neg_lo:[0,0,1] neg_hi:[0,0,1]
	v_pk_add_f16 v5, v8, v9 op_sel:[0,1] op_sel_hi:[1,0]
	v_pk_add_f16 v8, v8, v9 op_sel:[0,1] op_sel_hi:[1,0] neg_lo:[0,1] neg_hi:[0,1]
	v_pk_add_f16 v10, v10, v9 op_sel:[0,1] op_sel_hi:[1,0] neg_lo:[0,1] neg_hi:[0,1]
	;; [unrolled: 1-line block ×3, first 2 shown]
	v_bfi_b32 v5, s4, v5, v8
	v_bfi_b32 v3, s4, v10, v3
	ds_write_b32 v22, v5 offset:1496
	ds_write_b32 v2, v3 offset:4488
	ds_read_b32 v3, v22 offset:2244
	ds_read_b32 v5, v2 offset:3740
	s_waitcnt lgkmcnt(0)
	v_pk_add_f16 v8, v3, v5 neg_lo:[0,1] neg_hi:[0,1]
	v_pk_add_f16 v3, v3, v5
	v_bfi_b32 v5, s4, v8, v3
	v_bfi_b32 v3, s4, v3, v8
	v_pk_mul_f16 v5, v5, 0.5 op_sel_hi:[1,0]
	v_pk_mul_f16 v3, v3, 0.5 op_sel_hi:[1,0]
	s_waitcnt vmcnt(0)
	v_pk_fma_f16 v8, v13, v5, v3 op_sel:[1,0,0]
	v_pk_mul_f16 v9, v13, v5 op_sel_hi:[0,1]
	v_pk_fma_f16 v10, v13, v5, v3 op_sel:[1,0,0] neg_lo:[1,0,0] neg_hi:[1,0,0]
	v_pk_fma_f16 v3, v13, v5, v3 op_sel:[1,0,0] neg_lo:[0,0,1] neg_hi:[0,0,1]
	v_pk_add_f16 v5, v8, v9 op_sel:[0,1] op_sel_hi:[1,0]
	v_pk_add_f16 v8, v8, v9 op_sel:[0,1] op_sel_hi:[1,0] neg_lo:[0,1] neg_hi:[0,1]
	v_pk_add_f16 v10, v10, v9 op_sel:[0,1] op_sel_hi:[1,0] neg_lo:[0,1] neg_hi:[0,1]
	;; [unrolled: 1-line block ×3, first 2 shown]
	v_bfi_b32 v5, s4, v5, v8
	v_bfi_b32 v3, s4, v10, v3
	ds_write_b32 v22, v5 offset:2244
	ds_write_b32 v2, v3 offset:3740
	s_waitcnt lgkmcnt(0)
	s_barrier
	s_and_saveexec_b64 s[4:5], s[0:1]
	s_cbranch_execz .LBB0_24
; %bb.22:
	ds_read2_b32 v[8:9], v22 offset1:187
	v_mov_b32_e32 v2, s3
	v_add_co_u32_e32 v3, vcc, s2, v6
	v_add_u32_e32 v5, 0x500, v22
	v_addc_co_u32_e32 v2, vcc, v2, v7, vcc
	ds_read2_b32 v[5:6], v5 offset0:54 offset1:241
	v_add_co_u32_e32 v0, vcc, v3, v0
	v_add_u32_e32 v7, 0xb00, v22
	v_addc_co_u32_e32 v1, vcc, v2, v1, vcc
	ds_read2_b32 v[10:11], v7 offset0:44 offset1:231
	s_waitcnt lgkmcnt(2)
	global_store_dword v[0:1], v8, off
	global_store_dword v[0:1], v9, off offset:748
	s_waitcnt lgkmcnt(1)
	global_store_dword v[0:1], v5, off offset:1496
	global_store_dword v[0:1], v6, off offset:2244
	s_waitcnt lgkmcnt(0)
	global_store_dword v[0:1], v10, off offset:2992
	global_store_dword v[0:1], v11, off offset:3740
	v_add_u32_e32 v5, 0x1100, v22
	ds_read2_b32 v[5:6], v5 offset0:34 offset1:221
	v_add_co_u32_e32 v0, vcc, 0x1000, v0
	v_addc_co_u32_e32 v1, vcc, 0, v1, vcc
	s_movk_i32 s0, 0xba
	v_cmp_eq_u32_e32 vcc, s0, v4
	s_waitcnt lgkmcnt(0)
	global_store_dword v[0:1], v5, off offset:392
	global_store_dword v[0:1], v6, off offset:1140
	s_and_b64 exec, exec, vcc
	s_cbranch_execz .LBB0_24
; %bb.23:
	v_mov_b32_e32 v0, 0
	ds_read_b32 v4, v0 offset:5984
	v_add_co_u32_e32 v0, vcc, 0x1000, v3
	v_addc_co_u32_e32 v1, vcc, 0, v2, vcc
	s_waitcnt lgkmcnt(0)
	global_store_dword v[0:1], v4, off offset:1888
.LBB0_24:
	s_endpgm
	.section	.rodata,"a",@progbits
	.p2align	6, 0x0
	.amdhsa_kernel fft_rtc_fwd_len1496_factors_17_8_11_wgs_187_tpt_187_halfLds_half_ip_CI_unitstride_sbrr_R2C_dirReg
		.amdhsa_group_segment_fixed_size 0
		.amdhsa_private_segment_fixed_size 0
		.amdhsa_kernarg_size 88
		.amdhsa_user_sgpr_count 6
		.amdhsa_user_sgpr_private_segment_buffer 1
		.amdhsa_user_sgpr_dispatch_ptr 0
		.amdhsa_user_sgpr_queue_ptr 0
		.amdhsa_user_sgpr_kernarg_segment_ptr 1
		.amdhsa_user_sgpr_dispatch_id 0
		.amdhsa_user_sgpr_flat_scratch_init 0
		.amdhsa_user_sgpr_private_segment_size 0
		.amdhsa_uses_dynamic_stack 0
		.amdhsa_system_sgpr_private_segment_wavefront_offset 0
		.amdhsa_system_sgpr_workgroup_id_x 1
		.amdhsa_system_sgpr_workgroup_id_y 0
		.amdhsa_system_sgpr_workgroup_id_z 0
		.amdhsa_system_sgpr_workgroup_info 0
		.amdhsa_system_vgpr_workitem_id 0
		.amdhsa_next_free_vgpr 147
		.amdhsa_next_free_sgpr 30
		.amdhsa_reserve_vcc 1
		.amdhsa_reserve_flat_scratch 0
		.amdhsa_float_round_mode_32 0
		.amdhsa_float_round_mode_16_64 0
		.amdhsa_float_denorm_mode_32 3
		.amdhsa_float_denorm_mode_16_64 3
		.amdhsa_dx10_clamp 1
		.amdhsa_ieee_mode 1
		.amdhsa_fp16_overflow 0
		.amdhsa_exception_fp_ieee_invalid_op 0
		.amdhsa_exception_fp_denorm_src 0
		.amdhsa_exception_fp_ieee_div_zero 0
		.amdhsa_exception_fp_ieee_overflow 0
		.amdhsa_exception_fp_ieee_underflow 0
		.amdhsa_exception_fp_ieee_inexact 0
		.amdhsa_exception_int_div_zero 0
	.end_amdhsa_kernel
	.text
.Lfunc_end0:
	.size	fft_rtc_fwd_len1496_factors_17_8_11_wgs_187_tpt_187_halfLds_half_ip_CI_unitstride_sbrr_R2C_dirReg, .Lfunc_end0-fft_rtc_fwd_len1496_factors_17_8_11_wgs_187_tpt_187_halfLds_half_ip_CI_unitstride_sbrr_R2C_dirReg
                                        ; -- End function
	.section	.AMDGPU.csdata,"",@progbits
; Kernel info:
; codeLenInByte = 11244
; NumSgprs: 34
; NumVgprs: 147
; ScratchSize: 0
; MemoryBound: 0
; FloatMode: 240
; IeeeMode: 1
; LDSByteSize: 0 bytes/workgroup (compile time only)
; SGPRBlocks: 4
; VGPRBlocks: 36
; NumSGPRsForWavesPerEU: 34
; NumVGPRsForWavesPerEU: 147
; Occupancy: 1
; WaveLimiterHint : 1
; COMPUTE_PGM_RSRC2:SCRATCH_EN: 0
; COMPUTE_PGM_RSRC2:USER_SGPR: 6
; COMPUTE_PGM_RSRC2:TRAP_HANDLER: 0
; COMPUTE_PGM_RSRC2:TGID_X_EN: 1
; COMPUTE_PGM_RSRC2:TGID_Y_EN: 0
; COMPUTE_PGM_RSRC2:TGID_Z_EN: 0
; COMPUTE_PGM_RSRC2:TIDIG_COMP_CNT: 0
	.type	__hip_cuid_52e58d3277963aaa,@object ; @__hip_cuid_52e58d3277963aaa
	.section	.bss,"aw",@nobits
	.globl	__hip_cuid_52e58d3277963aaa
__hip_cuid_52e58d3277963aaa:
	.byte	0                               ; 0x0
	.size	__hip_cuid_52e58d3277963aaa, 1

	.ident	"AMD clang version 19.0.0git (https://github.com/RadeonOpenCompute/llvm-project roc-6.4.0 25133 c7fe45cf4b819c5991fe208aaa96edf142730f1d)"
	.section	".note.GNU-stack","",@progbits
	.addrsig
	.addrsig_sym __hip_cuid_52e58d3277963aaa
	.amdgpu_metadata
---
amdhsa.kernels:
  - .args:
      - .actual_access:  read_only
        .address_space:  global
        .offset:         0
        .size:           8
        .value_kind:     global_buffer
      - .offset:         8
        .size:           8
        .value_kind:     by_value
      - .actual_access:  read_only
        .address_space:  global
        .offset:         16
        .size:           8
        .value_kind:     global_buffer
      - .actual_access:  read_only
        .address_space:  global
        .offset:         24
        .size:           8
        .value_kind:     global_buffer
      - .offset:         32
        .size:           8
        .value_kind:     by_value
      - .actual_access:  read_only
        .address_space:  global
        .offset:         40
        .size:           8
        .value_kind:     global_buffer
      - .actual_access:  read_only
        .address_space:  global
        .offset:         48
        .size:           8
        .value_kind:     global_buffer
      - .offset:         56
        .size:           4
        .value_kind:     by_value
      - .actual_access:  read_only
        .address_space:  global
        .offset:         64
        .size:           8
        .value_kind:     global_buffer
      - .actual_access:  read_only
        .address_space:  global
        .offset:         72
        .size:           8
        .value_kind:     global_buffer
      - .address_space:  global
        .offset:         80
        .size:           8
        .value_kind:     global_buffer
    .group_segment_fixed_size: 0
    .kernarg_segment_align: 8
    .kernarg_segment_size: 88
    .language:       OpenCL C
    .language_version:
      - 2
      - 0
    .max_flat_workgroup_size: 187
    .name:           fft_rtc_fwd_len1496_factors_17_8_11_wgs_187_tpt_187_halfLds_half_ip_CI_unitstride_sbrr_R2C_dirReg
    .private_segment_fixed_size: 0
    .sgpr_count:     34
    .sgpr_spill_count: 0
    .symbol:         fft_rtc_fwd_len1496_factors_17_8_11_wgs_187_tpt_187_halfLds_half_ip_CI_unitstride_sbrr_R2C_dirReg.kd
    .uniform_work_group_size: 1
    .uses_dynamic_stack: false
    .vgpr_count:     147
    .vgpr_spill_count: 0
    .wavefront_size: 64
amdhsa.target:   amdgcn-amd-amdhsa--gfx906
amdhsa.version:
  - 1
  - 2
...

	.end_amdgpu_metadata
